;; amdgpu-corpus repo=ROCm/aiter kind=compiled arch=gfx90a opt=O3
	.text
	.amdgcn_target "amdgcn-amd-amdhsa--gfx90a"
	.amdhsa_code_object_version 6
	.section	.text._ZN7ck_tileL11flush_cacheEv,"axG",@progbits,_ZN7ck_tileL11flush_cacheEv,comdat
	.globl	_ZN7ck_tileL11flush_cacheEv     ; -- Begin function _ZN7ck_tileL11flush_cacheEv
	.p2align	8
	.type	_ZN7ck_tileL11flush_cacheEv,@function
_ZN7ck_tileL11flush_cacheEv:            ; @_ZN7ck_tileL11flush_cacheEv
; %bb.0:
	;;#ASMSTART
	s_icache_inv 
	s_nop 0 
	s_nop 0 
	;; [unrolled: 1-line block ×16, first 2 shown]
	
	;;#ASMEND
	s_endpgm
	.section	.rodata,"a",@progbits
	.p2align	6, 0x0
	.amdhsa_kernel _ZN7ck_tileL11flush_cacheEv
		.amdhsa_group_segment_fixed_size 0
		.amdhsa_private_segment_fixed_size 0
		.amdhsa_kernarg_size 0
		.amdhsa_user_sgpr_count 4
		.amdhsa_user_sgpr_private_segment_buffer 1
		.amdhsa_user_sgpr_dispatch_ptr 0
		.amdhsa_user_sgpr_queue_ptr 0
		.amdhsa_user_sgpr_kernarg_segment_ptr 0
		.amdhsa_user_sgpr_dispatch_id 0
		.amdhsa_user_sgpr_flat_scratch_init 0
		.amdhsa_user_sgpr_kernarg_preload_length 0
		.amdhsa_user_sgpr_kernarg_preload_offset 0
		.amdhsa_user_sgpr_private_segment_size 0
		.amdhsa_uses_dynamic_stack 0
		.amdhsa_system_sgpr_private_segment_wavefront_offset 0
		.amdhsa_system_sgpr_workgroup_id_x 1
		.amdhsa_system_sgpr_workgroup_id_y 0
		.amdhsa_system_sgpr_workgroup_id_z 0
		.amdhsa_system_sgpr_workgroup_info 0
		.amdhsa_system_vgpr_workitem_id 0
		.amdhsa_next_free_vgpr 1
		.amdhsa_next_free_sgpr 0
		.amdhsa_accum_offset 4
		.amdhsa_reserve_vcc 0
		.amdhsa_reserve_flat_scratch 0
		.amdhsa_float_round_mode_32 0
		.amdhsa_float_round_mode_16_64 0
		.amdhsa_float_denorm_mode_32 3
		.amdhsa_float_denorm_mode_16_64 3
		.amdhsa_dx10_clamp 1
		.amdhsa_ieee_mode 1
		.amdhsa_fp16_overflow 0
		.amdhsa_tg_split 0
		.amdhsa_exception_fp_ieee_invalid_op 0
		.amdhsa_exception_fp_denorm_src 0
		.amdhsa_exception_fp_ieee_div_zero 0
		.amdhsa_exception_fp_ieee_overflow 0
		.amdhsa_exception_fp_ieee_underflow 0
		.amdhsa_exception_fp_ieee_inexact 0
		.amdhsa_exception_int_div_zero 0
	.end_amdhsa_kernel
	.section	.text._ZN7ck_tileL11flush_cacheEv,"axG",@progbits,_ZN7ck_tileL11flush_cacheEv,comdat
.Lfunc_end0:
	.size	_ZN7ck_tileL11flush_cacheEv, .Lfunc_end0-_ZN7ck_tileL11flush_cacheEv
                                        ; -- End function
	.section	.AMDGPU.csdata,"",@progbits
; Kernel info:
; codeLenInByte = 140
; NumSgprs: 4
; NumVgprs: 0
; NumAgprs: 0
; TotalNumVgprs: 0
; ScratchSize: 0
; MemoryBound: 0
; FloatMode: 240
; IeeeMode: 1
; LDSByteSize: 0 bytes/workgroup (compile time only)
; SGPRBlocks: 0
; VGPRBlocks: 0
; NumSGPRsForWavesPerEU: 4
; NumVGPRsForWavesPerEU: 1
; AccumOffset: 4
; Occupancy: 8
; WaveLimiterHint : 0
; COMPUTE_PGM_RSRC2:SCRATCH_EN: 0
; COMPUTE_PGM_RSRC2:USER_SGPR: 4
; COMPUTE_PGM_RSRC2:TRAP_HANDLER: 0
; COMPUTE_PGM_RSRC2:TGID_X_EN: 1
; COMPUTE_PGM_RSRC2:TGID_Y_EN: 0
; COMPUTE_PGM_RSRC2:TGID_Z_EN: 0
; COMPUTE_PGM_RSRC2:TIDIG_COMP_CNT: 0
; COMPUTE_PGM_RSRC3_GFX90A:ACCUM_OFFSET: 0
; COMPUTE_PGM_RSRC3_GFX90A:TG_SPLIT: 0
	.section	.text._ZN12_GLOBAL__N_128groupnorm_kernel_dispatch_upIfLj1024EEEvjjlbPKT_PfS4_,"axG",@progbits,_ZN12_GLOBAL__N_128groupnorm_kernel_dispatch_upIfLj1024EEEvjjlbPKT_PfS4_,comdat
	.globl	_ZN12_GLOBAL__N_128groupnorm_kernel_dispatch_upIfLj1024EEEvjjlbPKT_PfS4_ ; -- Begin function _ZN12_GLOBAL__N_128groupnorm_kernel_dispatch_upIfLj1024EEEvjjlbPKT_PfS4_
	.p2align	8
	.type	_ZN12_GLOBAL__N_128groupnorm_kernel_dispatch_upIfLj1024EEEvjjlbPKT_PfS4_,@function
_ZN12_GLOBAL__N_128groupnorm_kernel_dispatch_upIfLj1024EEEvjjlbPKT_PfS4_: ; @_ZN12_GLOBAL__N_128groupnorm_kernel_dispatch_upIfLj1024EEEvjjlbPKT_PfS4_
; %bb.0:
	s_load_dword s16, s[4:5], 0x30
	s_add_u32 s8, s4, 48
	s_addc_u32 s9, s5, 0
	v_mov_b32_e32 v1, 0
	s_mov_b32 s10, 0
	s_waitcnt lgkmcnt(0)
	s_cmp_lt_u32 s6, s16
	s_cselect_b32 s0, 12, 18
	s_add_u32 s0, s8, s0
	s_addc_u32 s1, s9, 0
	global_load_ushort v1, v1, s[0:1]
	s_load_dwordx4 s[0:3], s[4:5], 0x0
	s_waitcnt lgkmcnt(0)
	s_mul_i32 s3, s1, s3
	s_mul_hi_u32 s11, s1, s2
	s_add_i32 s11, s11, s3
	s_cmp_lg_u64 s[10:11], 0
	s_mul_i32 s1, s1, s2
	s_cbranch_scc0 .LBB1_26
; %bb.1:
	v_cvt_f32_u32_e32 v2, s0
	v_cvt_f32_ubyte0_e32 v3, 0
	s_sub_u32 s10, 0, s0
	s_subb_u32 s12, 0, 0
	v_madmk_f32 v2, v3, 0x4f800000, v2
	v_rcp_f32_e32 v2, v2
	v_mul_f32_e32 v2, 0x5f7ffffc, v2
	v_mul_f32_e32 v3, 0x2f800000, v2
	v_trunc_f32_e32 v3, v3
	v_madmk_f32 v2, v3, 0xcf800000, v2
	v_cvt_u32_f32_e32 v3, v3
	v_cvt_u32_f32_e32 v2, v2
	v_readfirstlane_b32 s13, v3
	v_readfirstlane_b32 s14, v2
	s_mul_i32 s15, s10, s13
	s_mul_hi_u32 s18, s10, s14
	s_mul_i32 s17, s12, s14
	s_add_i32 s15, s18, s15
	s_add_i32 s15, s15, s17
	s_mul_i32 s19, s10, s14
	s_mul_hi_u32 s17, s14, s15
	s_mul_i32 s18, s14, s15
	s_mul_hi_u32 s14, s14, s19
	s_add_u32 s14, s14, s18
	s_addc_u32 s17, 0, s17
	s_mul_hi_u32 s20, s13, s19
	s_mul_i32 s19, s13, s19
	s_add_u32 s14, s14, s19
	s_mul_hi_u32 s18, s13, s15
	s_addc_u32 s14, s17, s20
	s_addc_u32 s17, s18, 0
	s_mul_i32 s15, s13, s15
	s_add_u32 s14, s14, s15
	s_addc_u32 s15, 0, s17
	v_add_co_u32_e32 v2, vcc, s14, v2
	s_cmp_lg_u64 vcc, 0
	s_addc_u32 s13, s13, s15
	v_readfirstlane_b32 s15, v2
	s_mul_i32 s14, s10, s13
	s_mul_hi_u32 s17, s10, s15
	s_add_i32 s14, s17, s14
	s_mul_i32 s12, s12, s15
	s_add_i32 s14, s14, s12
	s_mul_i32 s10, s10, s15
	s_mul_hi_u32 s17, s13, s10
	s_mul_i32 s18, s13, s10
	s_mul_i32 s20, s15, s14
	s_mul_hi_u32 s10, s15, s10
	s_mul_hi_u32 s19, s15, s14
	s_add_u32 s10, s10, s20
	s_addc_u32 s15, 0, s19
	s_add_u32 s10, s10, s18
	s_mul_hi_u32 s12, s13, s14
	s_addc_u32 s10, s15, s17
	s_addc_u32 s12, s12, 0
	s_mul_i32 s14, s13, s14
	s_add_u32 s10, s10, s14
	s_addc_u32 s12, 0, s12
	v_add_co_u32_e32 v2, vcc, s10, v2
	s_cmp_lg_u64 vcc, 0
	s_addc_u32 s14, s13, s12
	s_ashr_i32 s12, s11, 31
	s_add_u32 s10, s1, s12
	s_mov_b32 s13, s12
	s_addc_u32 s11, s11, s12
	s_xor_b64 s[10:11], s[10:11], s[12:13]
	v_readfirstlane_b32 s18, v2
	s_mul_i32 s17, s10, s14
	s_mul_hi_u32 s19, s10, s18
	s_mul_hi_u32 s15, s10, s14
	s_add_u32 s17, s19, s17
	s_addc_u32 s15, 0, s15
	s_mul_hi_u32 s20, s11, s18
	s_mul_i32 s18, s11, s18
	s_add_u32 s17, s17, s18
	s_mul_hi_u32 s19, s11, s14
	s_addc_u32 s15, s15, s20
	s_addc_u32 s17, s19, 0
	s_mul_i32 s14, s11, s14
	s_add_u32 s14, s15, s14
	s_addc_u32 s15, 0, s17
	s_add_u32 s17, s14, 1
	s_addc_u32 s18, s15, 0
	s_add_u32 s19, s14, 2
	s_mul_i32 s21, s0, s15
	s_mul_hi_u32 s22, s0, s14
	s_addc_u32 s20, s15, 0
	s_add_i32 s22, s22, s21
	s_mul_i32 s21, s0, s14
	v_mov_b32_e32 v2, s21
	v_sub_co_u32_e32 v2, vcc, s10, v2
	s_cmp_lg_u64 vcc, 0
	s_subb_u32 s10, s11, s22
	v_subrev_co_u32_e32 v3, vcc, s0, v2
	s_cmp_lg_u64 vcc, 0
	s_subb_u32 s11, s10, 0
	v_readfirstlane_b32 s21, v3
	s_cmp_ge_u32 s21, s0
	s_cselect_b32 s21, -1, 0
	s_cmp_eq_u32 s11, 0
	s_cselect_b32 s11, s21, -1
	s_cmp_lg_u32 s11, 0
	s_cselect_b32 s11, s20, s18
	v_readfirstlane_b32 s18, v2
	s_cselect_b32 s17, s19, s17
	s_cmp_ge_u32 s18, s0
	s_cselect_b32 s18, -1, 0
	s_cmp_eq_u32 s10, 0
	s_cselect_b32 s10, s18, -1
	s_cmp_lg_u32 s10, 0
	s_cselect_b32 s11, s11, s15
	s_cselect_b32 s10, s17, s14
	s_xor_b64 s[10:11], s[10:11], s[12:13]
	s_sub_u32 s10, s10, s12
	s_cbranch_execnz .LBB1_3
.LBB1_2:
	v_cvt_f32_u32_e32 v2, s0
	s_sub_i32 s2, 0, s0
	v_rcp_iflag_f32_e32 v2, v2
	v_mul_f32_e32 v2, 0x4f7ffffe, v2
	v_cvt_u32_f32_e32 v2, v2
	v_readfirstlane_b32 s3, v2
	s_mul_i32 s2, s2, s3
	s_mul_hi_u32 s2, s3, s2
	s_add_i32 s3, s3, s2
	s_mul_hi_u32 s2, s1, s3
	s_mul_i32 s10, s2, s0
	s_sub_i32 s1, s1, s10
	s_add_i32 s3, s2, 1
	s_sub_i32 s10, s1, s0
	s_cmp_ge_u32 s1, s0
	s_cselect_b32 s2, s3, s2
	s_cselect_b32 s1, s10, s1
	s_add_i32 s3, s2, 1
	s_cmp_ge_u32 s1, s0
	s_cselect_b32 s10, s3, s2
.LBB1_3:
	s_load_dword s11, s[4:5], 0x10
	s_load_dwordx4 s[0:3], s[4:5], 0x18
	s_waitcnt vmcnt(0)
	v_and_b32_e32 v1, 0xffff, v1
	v_mul_lo_u32 v1, s6, v1
	v_add_u32_e32 v1, v1, v0
	s_waitcnt lgkmcnt(0)
	s_bitcmp1_b32 s11, 0
	s_cselect_b64 s[12:13], -1, 0
	s_and_b64 vcc, exec, s[12:13]
	s_cbranch_vccnz .LBB1_9
; %bb.4:
	v_mov_b32_e32 v3, 0
	v_cmp_gt_u32_e32 vcc, s10, v1
	v_mov_b32_e32 v2, v3
	s_and_saveexec_b64 s[12:13], vcc
	s_cbranch_execz .LBB1_8
; %bb.5:
	s_load_dword s17, s[8:9], 0x10
	v_mov_b32_e32 v2, 0
	s_mul_i32 s11, s7, s10
	s_mov_b64 s[14:15], 0
	v_mov_b32_e32 v5, 0
	s_waitcnt lgkmcnt(0)
	s_lshr_b32 s17, s17, 16
	s_cmp_lg_u32 s17, 0
	s_cselect_b64 s[18:19], -1, 0
	s_cmp_lg_u64 s[18:19], 0
	s_addc_u32 s17, s16, 0
	s_lshl_b32 s17, s17, 10
	v_mov_b32_e32 v6, s1
	v_mov_b32_e32 v7, v1
	;; [unrolled: 1-line block ×3, first 2 shown]
.LBB1_6:                                ; =>This Inner Loop Header: Depth=1
	v_add_u32_e32 v4, s11, v7
	v_lshlrev_b64 v[8:9], 2, v[4:5]
	v_add_co_u32_e32 v8, vcc, s0, v8
	v_addc_co_u32_e32 v9, vcc, v6, v9, vcc
	global_load_dword v8, v[8:9], off
	v_add_u32_e32 v7, s17, v7
	v_cmp_le_u32_e32 vcc, s10, v7
	s_or_b64 s[14:15], vcc, s[14:15]
	s_waitcnt vmcnt(0)
	v_mul_f32_e32 v9, v8, v8
	v_pk_add_f32 v[2:3], v[2:3], v[8:9]
	s_andn2_b64 exec, exec, s[14:15]
	s_cbranch_execnz .LBB1_6
; %bb.7:
	s_or_b64 exec, exec, s[14:15]
.LBB1_8:
	s_or_b64 exec, exec, s[12:13]
	s_cbranch_execz .LBB1_10
	s_branch .LBB1_15
.LBB1_9:
                                        ; implicit-def: $vgpr3
.LBB1_10:
	v_lshlrev_b32_e32 v1, 2, v1
	v_mov_b32_e32 v3, 0
	v_cmp_gt_u32_e32 vcc, s10, v1
	v_mov_b32_e32 v2, v3
	s_and_saveexec_b64 s[12:13], vcc
	s_cbranch_execz .LBB1_14
; %bb.11:
	s_load_dword s14, s[8:9], 0x10
	v_mov_b32_e32 v2, 0
	s_mul_i32 s11, s7, s10
	s_mov_b64 s[8:9], 0
	v_mov_b32_e32 v5, 0
	s_waitcnt lgkmcnt(0)
	s_lshr_b32 s14, s14, 16
	s_cmp_lg_u32 s14, 0
	s_cselect_b64 s[14:15], -1, 0
	s_cmp_lg_u64 s[14:15], 0
	s_addc_u32 s14, s16, 0
	s_lshl_b32 s14, s14, 12
	v_mov_b32_e32 v6, s1
	v_mov_b32_e32 v3, v2
.LBB1_12:                               ; =>This Inner Loop Header: Depth=1
	v_add_u32_e32 v4, s11, v1
	v_lshlrev_b64 v[8:9], 2, v[4:5]
	v_add_co_u32_e32 v8, vcc, s0, v8
	v_addc_co_u32_e32 v9, vcc, v6, v9, vcc
	global_load_dwordx4 v[8:11], v[8:9], off
	v_add_u32_e32 v1, s14, v1
	v_cmp_le_u32_e32 vcc, s10, v1
	s_or_b64 s[8:9], vcc, s[8:9]
	s_waitcnt vmcnt(0)
	v_add_f32_e32 v4, v2, v8
	v_fmac_f32_e32 v3, v8, v8
	v_mov_b32_e32 v15, v11
	v_add_f32_e32 v14, v4, v9
	v_pk_mul_f32 v[12:13], v[10:11], v[10:11]
	v_fmac_f32_e32 v3, v9, v9
	v_pk_add_f32 v[8:9], v[14:15], v[10:11]
	v_mov_b32_e32 v2, v11
	v_add_f32_e32 v3, v3, v12
	v_mov_b32_e32 v9, v13
	v_pk_add_f32 v[2:3], v[8:9], v[2:3]
	s_andn2_b64 exec, exec, s[8:9]
	s_cbranch_execnz .LBB1_12
; %bb.13:
	s_or_b64 exec, exec, s[8:9]
.LBB1_14:
	s_or_b64 exec, exec, s[12:13]
.LBB1_15:
	v_mbcnt_lo_u32_b32 v1, -1, 0
	v_mbcnt_hi_u32_b32 v13, -1, v1
	v_and_b32_e32 v14, 63, v13
	v_cmp_gt_u32_e32 vcc, 32, v14
	v_cndmask_b32_e64 v1, 0, 1, vcc
	v_lshlrev_b32_e32 v1, 5, v1
	v_add_lshl_u32 v1, v1, v13, 2
	ds_bpermute_b32 v4, v1, v2
	ds_bpermute_b32 v5, v1, v3
	v_cmp_gt_u32_e32 vcc, 48, v14
	v_cndmask_b32_e64 v6, 0, 1, vcc
	v_lshlrev_b32_e32 v6, 4, v6
	v_add_lshl_u32 v6, v6, v13, 2
	s_waitcnt lgkmcnt(0)
	v_pk_add_f32 v[2:3], v[2:3], v[4:5]
	ds_bpermute_b32 v8, v6, v2
	ds_bpermute_b32 v9, v6, v3
	v_cmp_gt_u32_e32 vcc, 56, v14
	v_cndmask_b32_e64 v4, 0, 1, vcc
	v_lshlrev_b32_e32 v4, 3, v4
	v_add_lshl_u32 v7, v4, v13, 2
	s_waitcnt lgkmcnt(0)
	v_pk_add_f32 v[2:3], v[2:3], v[8:9]
	;; [unrolled: 8-line block ×4, first 2 shown]
	ds_bpermute_b32 v10, v9, v2
	ds_bpermute_b32 v11, v9, v3
	v_cmp_ne_u32_e32 vcc, 63, v14
	v_addc_co_u32_e32 v4, vcc, 0, v13, vcc
	s_waitcnt lgkmcnt(0)
	v_pk_add_f32 v[2:3], v[2:3], v[10:11]
	v_lshlrev_b32_e32 v10, 2, v4
	ds_bpermute_b32 v4, v10, v2
	ds_bpermute_b32 v5, v10, v3
	v_and_b32_e32 v11, 63, v0
	v_cmp_eq_u32_e32 vcc, 0, v11
	s_and_saveexec_b64 s[0:1], vcc
	s_cbranch_execz .LBB1_17
; %bb.16:
	v_lshrrev_b32_e32 v12, 3, v0
	s_waitcnt lgkmcnt(0)
	v_pk_add_f32 v[2:3], v[2:3], v[4:5]
	ds_write2_b32 v12, v2, v3 offset1:1
.LBB1_17:
	s_or_b64 exec, exec, s[0:1]
	v_cmp_gt_u32_e32 vcc, 16, v0
	s_waitcnt lgkmcnt(1)
	v_lshlrev_b32_e32 v4, 3, v11
	v_mov_b32_e32 v3, 0
	v_mov_b32_e32 v2, 0
	s_waitcnt lgkmcnt(0)
	s_barrier
	s_and_saveexec_b64 s[0:1], vcc
	s_cbranch_execnz .LBB1_24
; %bb.18:
	s_or_b64 exec, exec, s[0:1]
	s_and_saveexec_b64 s[0:1], vcc
	s_cbranch_execnz .LBB1_25
.LBB1_19:
	s_or_b64 exec, exec, s[0:1]
	v_cmp_gt_u32_e32 vcc, 64, v0
	s_and_saveexec_b64 s[0:1], vcc
	s_cbranch_execz .LBB1_21
.LBB1_20:
	s_waitcnt lgkmcnt(0)
	ds_bpermute_b32 v4, v1, v2
	ds_bpermute_b32 v5, v1, v3
	s_waitcnt lgkmcnt(0)
	v_pk_add_f32 v[2:3], v[2:3], v[4:5]
	ds_bpermute_b32 v12, v6, v2
	ds_bpermute_b32 v13, v6, v3
	s_waitcnt lgkmcnt(0)
	v_pk_add_f32 v[2:3], v[2:3], v[12:13]
	;; [unrolled: 4-line block ×6, first 2 shown]
.LBB1_21:
	s_or_b64 exec, exec, s[0:1]
	s_mov_b32 s1, 0
	v_cmp_eq_u32_e32 vcc, 0, v0
	s_and_saveexec_b64 s[8:9], vcc
	s_cbranch_execz .LBB1_23
; %bb.22:
	s_load_dwordx2 s[4:5], s[4:5], 0x28
	s_mul_i32 s0, s16, s7
	s_add_i32 s0, s0, s6
	s_lshl_b64 s[0:1], s[0:1], 2
	s_add_u32 s2, s2, s0
	s_addc_u32 s3, s3, s1
	s_waitcnt lgkmcnt(0)
	s_add_u32 s0, s4, s0
	v_mov_b32_e32 v0, 0
	s_addc_u32 s1, s5, s1
	global_store_dword v0, v2, s[2:3]
	global_store_dword v0, v3, s[0:1]
.LBB1_23:
	s_endpgm
.LBB1_24:
	ds_read_b32 v2, v4
	s_or_b64 exec, exec, s[0:1]
	s_and_saveexec_b64 s[0:1], vcc
	s_cbranch_execz .LBB1_19
.LBB1_25:
	ds_read_b32 v3, v4 offset:4
	s_or_b64 exec, exec, s[0:1]
	v_cmp_gt_u32_e32 vcc, 64, v0
	s_and_saveexec_b64 s[0:1], vcc
	s_cbranch_execnz .LBB1_20
	s_branch .LBB1_21
.LBB1_26:
                                        ; implicit-def: $sgpr10_sgpr11
	s_branch .LBB1_2
	.section	.rodata,"a",@progbits
	.p2align	6, 0x0
	.amdhsa_kernel _ZN12_GLOBAL__N_128groupnorm_kernel_dispatch_upIfLj1024EEEvjjlbPKT_PfS4_
		.amdhsa_group_segment_fixed_size 128
		.amdhsa_private_segment_fixed_size 0
		.amdhsa_kernarg_size 304
		.amdhsa_user_sgpr_count 6
		.amdhsa_user_sgpr_private_segment_buffer 1
		.amdhsa_user_sgpr_dispatch_ptr 0
		.amdhsa_user_sgpr_queue_ptr 0
		.amdhsa_user_sgpr_kernarg_segment_ptr 1
		.amdhsa_user_sgpr_dispatch_id 0
		.amdhsa_user_sgpr_flat_scratch_init 0
		.amdhsa_user_sgpr_kernarg_preload_length 0
		.amdhsa_user_sgpr_kernarg_preload_offset 0
		.amdhsa_user_sgpr_private_segment_size 0
		.amdhsa_uses_dynamic_stack 0
		.amdhsa_system_sgpr_private_segment_wavefront_offset 0
		.amdhsa_system_sgpr_workgroup_id_x 1
		.amdhsa_system_sgpr_workgroup_id_y 1
		.amdhsa_system_sgpr_workgroup_id_z 0
		.amdhsa_system_sgpr_workgroup_info 0
		.amdhsa_system_vgpr_workitem_id 0
		.amdhsa_next_free_vgpr 16
		.amdhsa_next_free_sgpr 23
		.amdhsa_accum_offset 16
		.amdhsa_reserve_vcc 1
		.amdhsa_reserve_flat_scratch 0
		.amdhsa_float_round_mode_32 0
		.amdhsa_float_round_mode_16_64 0
		.amdhsa_float_denorm_mode_32 3
		.amdhsa_float_denorm_mode_16_64 3
		.amdhsa_dx10_clamp 1
		.amdhsa_ieee_mode 1
		.amdhsa_fp16_overflow 0
		.amdhsa_tg_split 0
		.amdhsa_exception_fp_ieee_invalid_op 0
		.amdhsa_exception_fp_denorm_src 0
		.amdhsa_exception_fp_ieee_div_zero 0
		.amdhsa_exception_fp_ieee_overflow 0
		.amdhsa_exception_fp_ieee_underflow 0
		.amdhsa_exception_fp_ieee_inexact 0
		.amdhsa_exception_int_div_zero 0
	.end_amdhsa_kernel
	.section	.text._ZN12_GLOBAL__N_128groupnorm_kernel_dispatch_upIfLj1024EEEvjjlbPKT_PfS4_,"axG",@progbits,_ZN12_GLOBAL__N_128groupnorm_kernel_dispatch_upIfLj1024EEEvjjlbPKT_PfS4_,comdat
.Lfunc_end1:
	.size	_ZN12_GLOBAL__N_128groupnorm_kernel_dispatch_upIfLj1024EEEvjjlbPKT_PfS4_, .Lfunc_end1-_ZN12_GLOBAL__N_128groupnorm_kernel_dispatch_upIfLj1024EEEvjjlbPKT_PfS4_
                                        ; -- End function
	.section	.AMDGPU.csdata,"",@progbits
; Kernel info:
; codeLenInByte = 1804
; NumSgprs: 27
; NumVgprs: 16
; NumAgprs: 0
; TotalNumVgprs: 16
; ScratchSize: 0
; MemoryBound: 0
; FloatMode: 240
; IeeeMode: 1
; LDSByteSize: 128 bytes/workgroup (compile time only)
; SGPRBlocks: 3
; VGPRBlocks: 1
; NumSGPRsForWavesPerEU: 27
; NumVGPRsForWavesPerEU: 16
; AccumOffset: 16
; Occupancy: 8
; WaveLimiterHint : 0
; COMPUTE_PGM_RSRC2:SCRATCH_EN: 0
; COMPUTE_PGM_RSRC2:USER_SGPR: 6
; COMPUTE_PGM_RSRC2:TRAP_HANDLER: 0
; COMPUTE_PGM_RSRC2:TGID_X_EN: 1
; COMPUTE_PGM_RSRC2:TGID_Y_EN: 1
; COMPUTE_PGM_RSRC2:TGID_Z_EN: 0
; COMPUTE_PGM_RSRC2:TIDIG_COMP_CNT: 0
; COMPUTE_PGM_RSRC3_GFX90A:ACCUM_OFFSET: 3
; COMPUTE_PGM_RSRC3_GFX90A:TG_SPLIT: 0
	.section	.text._ZN12_GLOBAL__N_130groupnorm_kernel_dispatch_downIfLj1024EEEvjjlfbPKT_S3_S3_PKfS5_PS1_,"axG",@progbits,_ZN12_GLOBAL__N_130groupnorm_kernel_dispatch_downIfLj1024EEEvjjlfbPKT_S3_S3_PKfS5_PS1_,comdat
	.globl	_ZN12_GLOBAL__N_130groupnorm_kernel_dispatch_downIfLj1024EEEvjjlfbPKT_S3_S3_PKfS5_PS1_ ; -- Begin function _ZN12_GLOBAL__N_130groupnorm_kernel_dispatch_downIfLj1024EEEvjjlfbPKT_S3_S3_PKfS5_PS1_
	.p2align	8
	.type	_ZN12_GLOBAL__N_130groupnorm_kernel_dispatch_downIfLj1024EEEvjjlfbPKT_S3_S3_PKfS5_PS1_,@function
_ZN12_GLOBAL__N_130groupnorm_kernel_dispatch_downIfLj1024EEEvjjlfbPKT_S3_S3_PKfS5_PS1_: ; @_ZN12_GLOBAL__N_130groupnorm_kernel_dispatch_downIfLj1024EEEvjjlfbPKT_S3_S3_PKfS5_PS1_
; %bb.0:
	s_load_dword s30, s[4:5], 0x48
	s_add_u32 s0, s4, 0x48
	s_addc_u32 s1, s5, 0
	v_mov_b32_e32 v1, 0
	s_mov_b32 s10, 0
	s_waitcnt lgkmcnt(0)
	s_cmp_lt_u32 s6, s30
	s_cselect_b32 s2, 12, 18
	s_add_u32 s0, s0, s2
	s_addc_u32 s1, s1, 0
	global_load_ushort v1, v1, s[0:1]
	s_load_dwordx4 s[0:3], s[4:5], 0x0
	s_waitcnt lgkmcnt(0)
	s_mul_i32 s8, s1, s3
	s_mul_hi_u32 s9, s1, s2
	s_add_i32 s11, s9, s8
	s_cmp_lg_u64 s[10:11], 0
	s_mul_i32 s10, s1, s2
	s_cbranch_scc0 .LBB2_52
; %bb.1:
	v_cvt_f32_u32_e32 v2, s0
	v_cvt_f32_ubyte0_e32 v3, 0
	s_sub_u32 s12, 0, s0
	s_subb_u32 s13, 0, 0
	v_madmk_f32 v2, v3, 0x4f800000, v2
	v_rcp_f32_e32 v2, v2
	v_mul_f32_e32 v2, 0x5f7ffffc, v2
	v_mul_f32_e32 v3, 0x2f800000, v2
	v_trunc_f32_e32 v3, v3
	v_madmk_f32 v2, v3, 0xcf800000, v2
	v_cvt_u32_f32_e32 v3, v3
	v_cvt_u32_f32_e32 v2, v2
	v_readfirstlane_b32 s14, v3
	v_readfirstlane_b32 s15, v2
	s_mul_i32 s16, s12, s14
	s_mul_hi_u32 s18, s12, s15
	s_mul_i32 s17, s13, s15
	s_add_i32 s16, s18, s16
	s_add_i32 s16, s16, s17
	s_mul_i32 s19, s12, s15
	s_mul_hi_u32 s17, s15, s16
	s_mul_i32 s18, s15, s16
	s_mul_hi_u32 s15, s15, s19
	s_add_u32 s15, s15, s18
	s_addc_u32 s17, 0, s17
	s_mul_hi_u32 s20, s14, s19
	s_mul_i32 s19, s14, s19
	s_add_u32 s15, s15, s19
	s_mul_hi_u32 s18, s14, s16
	s_addc_u32 s15, s17, s20
	s_addc_u32 s17, s18, 0
	s_mul_i32 s16, s14, s16
	s_add_u32 s15, s15, s16
	s_addc_u32 s16, 0, s17
	v_add_co_u32_e32 v2, vcc, s15, v2
	s_cmp_lg_u64 vcc, 0
	s_addc_u32 s14, s14, s16
	v_readfirstlane_b32 s16, v2
	s_mul_i32 s15, s12, s14
	s_mul_hi_u32 s17, s12, s16
	s_add_i32 s15, s17, s15
	s_mul_i32 s13, s13, s16
	s_add_i32 s15, s15, s13
	s_mul_i32 s12, s12, s16
	s_mul_hi_u32 s17, s14, s12
	s_mul_i32 s18, s14, s12
	s_mul_i32 s20, s16, s15
	s_mul_hi_u32 s12, s16, s12
	s_mul_hi_u32 s19, s16, s15
	s_add_u32 s12, s12, s20
	s_addc_u32 s16, 0, s19
	s_add_u32 s12, s12, s18
	s_mul_hi_u32 s13, s14, s15
	s_addc_u32 s12, s16, s17
	s_addc_u32 s13, s13, 0
	s_mul_i32 s15, s14, s15
	s_add_u32 s12, s12, s15
	s_addc_u32 s13, 0, s13
	v_add_co_u32_e32 v2, vcc, s12, v2
	s_cmp_lg_u64 vcc, 0
	s_addc_u32 s16, s14, s13
	s_ashr_i32 s12, s11, 31
	s_add_u32 s14, s10, s12
	s_mov_b32 s13, s12
	s_addc_u32 s15, s11, s12
	s_xor_b64 s[14:15], s[14:15], s[12:13]
	v_readfirstlane_b32 s18, v2
	s_mul_i32 s17, s14, s16
	s_mul_hi_u32 s19, s14, s18
	s_mul_hi_u32 s11, s14, s16
	s_add_u32 s17, s19, s17
	s_addc_u32 s11, 0, s11
	s_mul_hi_u32 s20, s15, s18
	s_mul_i32 s18, s15, s18
	s_add_u32 s17, s17, s18
	s_mul_hi_u32 s19, s15, s16
	s_addc_u32 s11, s11, s20
	s_addc_u32 s17, s19, 0
	s_mul_i32 s16, s15, s16
	s_add_u32 s11, s11, s16
	s_addc_u32 s16, 0, s17
	s_add_u32 s17, s11, 1
	s_addc_u32 s18, s16, 0
	s_add_u32 s19, s11, 2
	s_mul_i32 s21, s0, s16
	s_mul_hi_u32 s22, s0, s11
	s_addc_u32 s20, s16, 0
	s_add_i32 s22, s22, s21
	s_mul_i32 s21, s0, s11
	v_mov_b32_e32 v2, s21
	v_sub_co_u32_e32 v2, vcc, s14, v2
	s_cmp_lg_u64 vcc, 0
	s_subb_u32 s14, s15, s22
	v_subrev_co_u32_e32 v3, vcc, s0, v2
	s_cmp_lg_u64 vcc, 0
	s_subb_u32 s15, s14, 0
	v_readfirstlane_b32 s21, v3
	s_cmp_ge_u32 s21, s0
	s_cselect_b32 s21, -1, 0
	s_cmp_eq_u32 s15, 0
	s_cselect_b32 s15, s21, -1
	s_cmp_lg_u32 s15, 0
	s_cselect_b32 s15, s20, s18
	v_readfirstlane_b32 s18, v2
	s_cselect_b32 s17, s19, s17
	s_cmp_ge_u32 s18, s0
	s_cselect_b32 s18, -1, 0
	s_cmp_eq_u32 s14, 0
	s_cselect_b32 s14, s18, -1
	s_cmp_lg_u32 s14, 0
	s_cselect_b32 s15, s15, s16
	s_cselect_b32 s14, s17, s11
	s_xor_b64 s[14:15], s[14:15], s[12:13]
	s_sub_u32 s20, s14, s12
	s_cbranch_execnz .LBB2_3
.LBB2_2:
	v_cvt_f32_u32_e32 v2, s0
	s_sub_i32 s8, 0, s0
	v_rcp_iflag_f32_e32 v2, v2
	v_mul_f32_e32 v2, 0x4f7ffffe, v2
	v_cvt_u32_f32_e32 v2, v2
	v_readfirstlane_b32 s9, v2
	s_mul_i32 s8, s8, s9
	s_mul_hi_u32 s8, s9, s8
	s_add_i32 s9, s9, s8
	s_mul_hi_u32 s8, s10, s9
	s_mul_i32 s11, s8, s0
	s_sub_i32 s10, s10, s11
	s_add_i32 s9, s8, 1
	s_sub_i32 s11, s10, s0
	s_cmp_ge_u32 s10, s0
	s_cselect_b32 s8, s9, s8
	s_cselect_b32 s10, s11, s10
	s_add_i32 s9, s8, 1
	s_cmp_ge_u32 s10, s0
	s_cselect_b32 s20, s9, s8
.LBB2_3:
	s_load_dwordx8 s[8:15], s[4:5], 0x18
	s_load_dwordx4 s[16:19], s[4:5], 0x38
	v_mov_b32_e32 v3, 0
	v_cmp_gt_u32_e32 vcc, s30, v0
	v_mov_b32_e32 v2, v3
	s_and_saveexec_b64 s[22:23], vcc
	s_cbranch_execz .LBB2_7
; %bb.4:
	v_mov_b32_e32 v2, 0
	s_mul_i32 s0, s30, s7
	s_mov_b64 s[24:25], 0
	v_mov_b32_e32 v5, 0
	s_waitcnt lgkmcnt(0)
	v_mov_b32_e32 v6, s15
	v_mov_b32_e32 v7, s17
	;; [unrolled: 1-line block ×4, first 2 shown]
.LBB2_5:                                ; =>This Inner Loop Header: Depth=1
	v_add_u32_e32 v4, s0, v8
	v_lshlrev_b64 v[10:11], 2, v[4:5]
	v_add_co_u32_e32 v12, vcc, s14, v10
	v_addc_co_u32_e32 v13, vcc, v6, v11, vcc
	v_add_co_u32_e32 v10, vcc, s16, v10
	v_addc_co_u32_e32 v11, vcc, v7, v11, vcc
	global_load_dword v14, v[12:13], off
	global_load_dword v15, v[10:11], off
	v_add_u32_e32 v8, 0x400, v8
	v_cmp_le_u32_e32 vcc, s30, v8
	s_or_b64 s[24:25], vcc, s[24:25]
	s_waitcnt vmcnt(0)
	v_pk_add_f32 v[2:3], v[2:3], v[14:15]
	s_andn2_b64 exec, exec, s[24:25]
	s_cbranch_execnz .LBB2_5
; %bb.6:
	s_or_b64 exec, exec, s[24:25]
.LBB2_7:
	s_or_b64 exec, exec, s[22:23]
	v_mbcnt_lo_u32_b32 v4, -1, 0
	v_mbcnt_hi_u32_b32 v14, -1, v4
	v_and_b32_e32 v15, 63, v14
	v_cmp_gt_u32_e32 vcc, 32, v15
	v_cndmask_b32_e64 v4, 0, 1, vcc
	v_lshlrev_b32_e32 v4, 5, v4
	v_add_lshl_u32 v6, v4, v14, 2
	ds_bpermute_b32 v4, v6, v2
	ds_bpermute_b32 v5, v6, v3
	v_cmp_gt_u32_e32 vcc, 48, v15
	v_cndmask_b32_e64 v7, 0, 1, vcc
	v_lshlrev_b32_e32 v7, 4, v7
	v_add_lshl_u32 v7, v7, v14, 2
	s_waitcnt lgkmcnt(0)
	v_pk_add_f32 v[2:3], v[2:3], v[4:5]
	ds_bpermute_b32 v10, v7, v2
	ds_bpermute_b32 v11, v7, v3
	v_cmp_gt_u32_e32 vcc, 56, v15
	v_cndmask_b32_e64 v4, 0, 1, vcc
	v_lshlrev_b32_e32 v4, 3, v4
	v_add_lshl_u32 v8, v4, v14, 2
	s_waitcnt lgkmcnt(0)
	v_pk_add_f32 v[2:3], v[2:3], v[10:11]
	;; [unrolled: 8-line block ×4, first 2 shown]
	ds_bpermute_b32 v12, v10, v2
	ds_bpermute_b32 v13, v10, v3
	v_cmp_ne_u32_e32 vcc, 63, v15
	v_addc_co_u32_e32 v4, vcc, 0, v14, vcc
	v_lshlrev_b32_e32 v11, 2, v4
	s_waitcnt lgkmcnt(0)
	v_pk_add_f32 v[2:3], v[2:3], v[12:13]
	ds_bpermute_b32 v4, v11, v2
	ds_bpermute_b32 v5, v11, v3
	v_and_b32_e32 v12, 63, v0
	s_mov_b32 s21, s1
	v_cmp_eq_u32_e32 vcc, 0, v12
	s_and_saveexec_b64 s[0:1], vcc
	s_cbranch_execz .LBB2_9
; %bb.8:
	v_lshrrev_b32_e32 v13, 3, v0
	s_waitcnt lgkmcnt(0)
	v_pk_add_f32 v[2:3], v[2:3], v[4:5]
	ds_write2_b32 v13, v2, v3 offset1:1
.LBB2_9:
	s_or_b64 exec, exec, s[0:1]
	v_cmp_gt_u32_e32 vcc, 16, v0
	s_waitcnt lgkmcnt(1)
	v_lshlrev_b32_e32 v4, 3, v12
	v_mov_b32_e32 v3, 0
	v_mov_b32_e32 v2, 0
	s_waitcnt lgkmcnt(0)
	s_barrier
	s_and_saveexec_b64 s[0:1], vcc
	s_cbranch_execnz .LBB2_31
; %bb.10:
	s_or_b64 exec, exec, s[0:1]
	s_and_saveexec_b64 s[0:1], vcc
	s_cbranch_execnz .LBB2_32
.LBB2_11:
	s_or_b64 exec, exec, s[0:1]
	v_cmp_gt_u32_e32 vcc, 64, v0
	s_and_saveexec_b64 s[0:1], vcc
	s_cbranch_execnz .LBB2_33
.LBB2_12:
	s_or_b64 exec, exec, s[0:1]
	v_cmp_eq_u32_e32 vcc, 0, v0
	s_and_saveexec_b64 s[0:1], vcc
	s_cbranch_execz .LBB2_14
.LBB2_13:
	v_mov_b32_e32 v4, 0
	s_waitcnt lgkmcnt(0)
	ds_write_b64 v4, v[2:3]
.LBB2_14:
	s_or_b64 exec, exec, s[0:1]
	s_waitcnt lgkmcnt(0)
	v_mov_b32_e32 v2, 0
	s_barrier
	ds_read_b64 v[2:3], v2
	v_cvt_f32_u32_e32 v5, s20
	s_load_dwordx2 s[0:1], s[4:5], 0x10
	s_waitcnt vmcnt(0)
	v_and_b32_e32 v1, 0xffff, v1
	v_mul_lo_u32 v1, s6, v1
	s_waitcnt lgkmcnt(0)
	v_div_scale_f32 v4, s[4:5], v5, v5, v2
	v_rcp_f32_e32 v6, v4
	s_bitcmp1_b32 s1, 0
	s_cselect_b64 s[4:5], -1, 0
	v_fma_f32 v7, -v4, v6, 1.0
	v_fmac_f32_e32 v6, v7, v6
	v_div_scale_f32 v7, vcc, v2, v5, v2
	v_mul_f32_e32 v8, v7, v6
	v_fma_f32 v9, -v4, v8, v7
	v_fmac_f32_e32 v8, v9, v6
	v_fma_f32 v4, -v4, v8, v7
	v_div_scale_f32 v7, s[14:15], v5, v5, v3
	v_rcp_f32_e32 v9, v7
	v_div_fmas_f32 v4, v4, v6, v8
	v_div_fixup_f32 v4, v4, v5, v2
	v_fma_f32 v2, -v7, v9, 1.0
	v_fmac_f32_e32 v9, v2, v9
	v_div_scale_f32 v2, vcc, v3, v5, v3
	v_mul_f32_e32 v6, v2, v9
	v_fma_f32 v8, -v7, v6, v2
	v_fmac_f32_e32 v6, v8, v9
	v_fma_f32 v2, -v7, v6, v2
	v_div_fmas_f32 v2, v2, v9, v6
	v_div_fixup_f32 v2, v2, v5, v3
	v_fma_f32 v2, -v4, v4, v2
	v_add_f32_e32 v2, s0, v2
	v_cvt_f64_f32_e32 v[2:3], v2
	v_rsq_f64_e32 v[6:7], v[2:3]
	v_add_u32_e32 v5, v1, v0
	s_mov_b32 s0, 0
	s_mov_b32 s1, 0x3fd80000
	v_mul_f64 v[0:1], v[6:7], -v[2:3]
	v_fma_f64 v[0:1], v[0:1], v[6:7], 1.0
	v_mul_f64 v[2:3], v[6:7], v[0:1]
	v_fma_f64 v[0:1], v[0:1], s[0:1], 0.5
	v_fma_f64 v[0:1], v[2:3], v[0:1], v[6:7]
	v_mov_b32_e32 v2, 0x180
	v_cmp_class_f64_e32 vcc, v[6:7], v2
	v_cndmask_b32_e32 v1, v7, v1, vcc
	v_cndmask_b32_e32 v0, v6, v0, vcc
	v_cvt_f32_f64_e32 v6, v[0:1]
	s_mov_b64 s[0:1], -1
	s_and_b64 vcc, exec, s[4:5]
	s_cbranch_vccnz .LBB2_35
; %bb.15:
	v_cmp_gt_u32_e32 vcc, s20, v5
	s_and_saveexec_b64 s[4:5], vcc
	s_cbranch_execz .LBB2_34
; %bb.16:
	v_cvt_f32_u32_e32 v2, s21
	v_cvt_f32_u32_e32 v0, s2
	v_cvt_f32_ubyte0_e32 v3, 0
	s_cmp_lg_u64 s[10:11], 0
	v_mac_f32_e32 v2, 0x4f800000, v3
	v_rcp_iflag_f32_e32 v0, v0
	v_rcp_f32_e32 v2, v2
	s_cselect_b64 s[16:17], -1, 0
	s_cmp_lg_u64 s[12:13], 0
	v_mul_f32_e32 v0, 0x4f7ffffe, v0
	v_mul_f32_e32 v2, 0x5f7ffffc, v2
	v_cvt_u32_f32_e32 v0, v0
	v_mul_f32_e32 v7, 0x2f800000, v2
	v_trunc_f32_e32 v8, v7
	v_mac_f32_e32 v2, 0xcf800000, v8
	s_cselect_b64 s[22:23], -1, 0
	s_sub_i32 s0, 0, s2
	v_cvt_u32_f32_e32 v7, v2
	v_cvt_u32_f32_e32 v10, v8
	v_mul_lo_u32 v3, s0, v0
	v_mul_hi_u32 v2, v0, v3
	s_mul_i32 s6, s7, s20
	s_mov_b64 s[14:15], 0
	s_lshl_b32 s31, s30, 10
	v_mov_b32_e32 v1, 0
	s_mov_b32 s24, 0
	s_mov_b32 s25, s3
	s_ashr_i32 s26, s3, 31
	v_add_u32_e32 v11, v0, v2
	v_mov_b32_e32 v12, v5
	s_branch .LBB2_19
.LBB2_17:                               ;   in Loop: Header=BB2_19 Depth=1
	v_mov_b32_e32 v9, v1
	v_lshlrev_b64 v[8:9], 2, v[8:9]
	v_mov_b32_e32 v3, s13
	v_add_co_u32_e32 v8, vcc, s12, v8
	v_addc_co_u32_e32 v9, vcc, v3, v9, vcc
	global_load_dword v3, v[8:9], off
.LBB2_18:                               ;   in Loop: Header=BB2_19 Depth=1
	v_lshlrev_b64 v[8:9], 2, v[0:1]
	v_mov_b32_e32 v0, s9
	v_add_co_u32_e32 v14, vcc, s8, v8
	v_addc_co_u32_e32 v15, vcc, v0, v9, vcc
	global_load_dword v0, v[14:15], off
	v_mov_b32_e32 v13, s19
	v_add_co_u32_e32 v8, vcc, s18, v8
	v_add_u32_e32 v12, s31, v12
	v_addc_co_u32_e32 v9, vcc, v13, v9, vcc
	v_cmp_le_u32_e32 vcc, s20, v12
	s_or_b64 s[14:15], vcc, s[14:15]
	s_waitcnt vmcnt(0)
	v_sub_f32_e32 v0, v0, v4
	v_mul_f32_e32 v0, v0, v6
	v_fmac_f32_e32 v3, v2, v0
	global_store_dword v[8:9], v3, off
	s_andn2_b64 exec, exec, s[14:15]
	s_cbranch_execz .LBB2_34
.LBB2_19:                               ; =>This Inner Loop Header: Depth=1
	s_cmp_lg_u64 s[24:25], 0
	v_add_u32_e32 v0, s6, v12
	s_cbranch_scc0 .LBB2_30
; %bb.20:                               ;   in Loop: Header=BB2_19 Depth=1
	s_add_u32 s0, s2, s26
	s_mov_b32 s27, s26
	s_addc_u32 s1, s3, s26
	s_xor_b64 s[28:29], s[0:1], s[26:27]
	v_cvt_f32_u32_e32 v2, s28
	v_cvt_f32_u32_e32 v3, s29
	s_sub_u32 s0, 0, s28
	s_subb_u32 s1, 0, s29
	v_mac_f32_e32 v2, 0x4f800000, v3
	v_rcp_f32_e32 v2, v2
	v_mul_f32_e32 v2, 0x5f7ffffc, v2
	v_mul_f32_e32 v3, 0x2f800000, v2
	v_trunc_f32_e32 v3, v3
	v_mac_f32_e32 v2, 0xcf800000, v3
	v_cvt_u32_f32_e32 v3, v3
	v_cvt_u32_f32_e32 v2, v2
	v_mul_lo_u32 v8, s0, v3
	v_mul_hi_u32 v13, s0, v2
	v_mul_lo_u32 v9, s1, v2
	v_add_u32_e32 v8, v13, v8
	v_mul_lo_u32 v14, s0, v2
	v_add_u32_e32 v8, v8, v9
	v_mul_lo_u32 v13, v2, v8
	v_mul_hi_u32 v15, v2, v14
	v_mul_hi_u32 v9, v2, v8
	v_add_co_u32_e32 v13, vcc, v15, v13
	v_addc_co_u32_e32 v9, vcc, 0, v9, vcc
	v_mul_hi_u32 v16, v3, v14
	v_mul_lo_u32 v14, v3, v14
	v_add_co_u32_e32 v13, vcc, v13, v14
	v_mul_hi_u32 v15, v3, v8
	v_addc_co_u32_e32 v9, vcc, v9, v16, vcc
	v_addc_co_u32_e32 v13, vcc, 0, v15, vcc
	v_mul_lo_u32 v8, v3, v8
	v_add_co_u32_e32 v8, vcc, v9, v8
	v_addc_co_u32_e32 v9, vcc, 0, v13, vcc
	v_add_co_u32_e32 v2, vcc, v2, v8
	v_addc_co_u32_e32 v3, vcc, v3, v9, vcc
	v_mul_lo_u32 v8, s0, v3
	v_mul_hi_u32 v9, s0, v2
	v_add_u32_e32 v8, v9, v8
	v_mul_lo_u32 v9, s1, v2
	v_add_u32_e32 v8, v8, v9
	v_mul_lo_u32 v13, s0, v2
	v_mul_hi_u32 v14, v3, v13
	v_mul_lo_u32 v15, v3, v13
	v_mul_lo_u32 v17, v2, v8
	v_mul_hi_u32 v13, v2, v13
	v_mul_hi_u32 v16, v2, v8
	v_add_co_u32_e32 v13, vcc, v13, v17
	v_addc_co_u32_e32 v16, vcc, 0, v16, vcc
	v_add_co_u32_e32 v13, vcc, v13, v15
	v_mul_hi_u32 v9, v3, v8
	v_addc_co_u32_e32 v13, vcc, v16, v14, vcc
	v_addc_co_u32_e32 v9, vcc, 0, v9, vcc
	v_mul_lo_u32 v8, v3, v8
	v_add_co_u32_e32 v8, vcc, v13, v8
	v_addc_co_u32_e32 v9, vcc, 0, v9, vcc
	v_add_co_u32_e32 v8, vcc, v2, v8
	v_addc_co_u32_e32 v9, vcc, v3, v9, vcc
	v_mad_u64_u32 v[2:3], s[0:1], v0, v9, 0
	v_mul_hi_u32 v13, v0, v8
	v_add_co_u32_e32 v13, vcc, v13, v2
	v_addc_co_u32_e32 v14, vcc, 0, v3, vcc
	v_mad_u64_u32 v[2:3], s[0:1], 0, v9, 0
	v_mad_u64_u32 v[8:9], s[0:1], 0, v8, 0
	v_add_co_u32_e32 v8, vcc, v13, v8
	v_addc_co_u32_e32 v8, vcc, v14, v9, vcc
	v_addc_co_u32_e32 v3, vcc, 0, v3, vcc
	v_add_co_u32_e32 v8, vcc, v8, v2
	v_addc_co_u32_e32 v9, vcc, 0, v3, vcc
	v_mul_lo_u32 v13, s29, v8
	v_mul_lo_u32 v14, s28, v9
	v_mad_u64_u32 v[2:3], s[0:1], s28, v8, 0
	v_add3_u32 v3, v3, v14, v13
	v_sub_u32_e32 v13, 0, v3
	v_mov_b32_e32 v14, s29
	v_sub_co_u32_e32 v2, vcc, v0, v2
	v_subb_co_u32_e64 v13, s[0:1], v13, v14, vcc
	v_subrev_co_u32_e64 v14, s[0:1], s28, v2
	v_subbrev_co_u32_e64 v13, s[0:1], 0, v13, s[0:1]
	v_cmp_le_u32_e64 s[0:1], s29, v13
	v_cndmask_b32_e64 v15, 0, -1, s[0:1]
	v_cmp_le_u32_e64 s[0:1], s28, v14
	v_cndmask_b32_e64 v14, 0, -1, s[0:1]
	v_cmp_eq_u32_e64 s[0:1], s29, v13
	v_cndmask_b32_e64 v13, v15, v14, s[0:1]
	v_add_co_u32_e64 v14, s[0:1], 2, v8
	v_addc_co_u32_e64 v15, s[0:1], 0, v9, s[0:1]
	v_add_co_u32_e64 v16, s[0:1], 1, v8
	v_addc_co_u32_e64 v17, s[0:1], 0, v9, s[0:1]
	v_subb_co_u32_e32 v3, vcc, 0, v3, vcc
	v_cmp_ne_u32_e64 s[0:1], 0, v13
	v_cmp_le_u32_e32 vcc, s29, v3
	v_cndmask_b32_e64 v13, v17, v15, s[0:1]
	v_cndmask_b32_e64 v15, 0, -1, vcc
	v_cmp_le_u32_e32 vcc, s28, v2
	v_cndmask_b32_e64 v2, 0, -1, vcc
	v_cmp_eq_u32_e32 vcc, s29, v3
	v_cndmask_b32_e32 v2, v15, v2, vcc
	v_cmp_ne_u32_e32 vcc, 0, v2
	v_cndmask_b32_e64 v3, v16, v14, s[0:1]
	v_cndmask_b32_e32 v2, v9, v13, vcc
	v_cndmask_b32_e32 v3, v8, v3, vcc
	v_xor_b32_e32 v8, s26, v2
	v_xor_b32_e32 v2, s26, v3
	v_mov_b32_e32 v3, s26
	v_subrev_co_u32_e32 v2, vcc, s26, v2
	v_subb_co_u32_e32 v3, vcc, v8, v3, vcc
	s_cbranch_execnz .LBB2_22
.LBB2_21:                               ;   in Loop: Header=BB2_19 Depth=1
	v_mul_hi_u32 v2, v0, v11
	v_mul_lo_u32 v3, v2, s2
	v_sub_u32_e32 v3, v0, v3
	v_subrev_u32_e32 v8, s2, v3
	v_cmp_le_u32_e32 vcc, s2, v3
	v_cndmask_b32_e32 v3, v3, v8, vcc
	v_add_u32_e32 v8, 1, v2
	v_cndmask_b32_e32 v2, v2, v8, vcc
	v_add_u32_e32 v8, 1, v2
	v_cmp_le_u32_e32 vcc, s2, v3
	v_cndmask_b32_e32 v2, v2, v8, vcc
	v_mov_b32_e32 v3, v1
.LBB2_22:                               ;   in Loop: Header=BB2_19 Depth=1
	v_mov_b32_e32 v8, v1
	v_mov_b32_e32 v9, v3
	v_cmp_ne_u64_e32 vcc, 0, v[8:9]
                                        ; implicit-def: $vgpr8_vgpr9
	s_and_saveexec_b64 s[0:1], vcc
	s_xor_b64 s[0:1], exec, s[0:1]
	s_cbranch_execnz .LBB2_26
; %bb.23:                               ;   in Loop: Header=BB2_19 Depth=1
	s_andn2_saveexec_b64 s[0:1], s[0:1]
	s_cbranch_execnz .LBB2_27
.LBB2_24:                               ;   in Loop: Header=BB2_19 Depth=1
	s_or_b64 exec, exec, s[0:1]
	s_andn2_b64 vcc, exec, s[16:17]
	s_cbranch_vccnz .LBB2_28
.LBB2_25:                               ;   in Loop: Header=BB2_19 Depth=1
	v_mov_b32_e32 v9, v1
	v_lshlrev_b64 v[2:3], 2, v[8:9]
	v_mov_b32_e32 v9, s11
	v_add_co_u32_e32 v2, vcc, s10, v2
	v_addc_co_u32_e32 v3, vcc, v9, v3, vcc
	global_load_dword v2, v[2:3], off
	s_andn2_b64 vcc, exec, s[22:23]
	s_cbranch_vccz .LBB2_17
	s_branch .LBB2_29
.LBB2_26:                               ;   in Loop: Header=BB2_19 Depth=1
	s_sub_u32 s27, 0, s21
	s_subb_u32 s28, 0, 0
	v_mul_hi_u32 v9, s27, v7
	v_mul_lo_u32 v13, s27, v10
	v_mul_lo_u32 v8, s28, v7
	v_add_u32_e32 v9, v9, v13
	v_add_u32_e32 v8, v9, v8
	v_mul_lo_u32 v14, s27, v7
	v_mul_lo_u32 v13, v7, v8
	v_mul_hi_u32 v15, v7, v14
	v_mul_hi_u32 v9, v7, v8
	v_add_co_u32_e32 v13, vcc, v15, v13
	v_addc_co_u32_e32 v9, vcc, 0, v9, vcc
	v_mul_hi_u32 v16, v10, v14
	v_mul_lo_u32 v14, v10, v14
	v_add_co_u32_e32 v13, vcc, v13, v14
	v_mul_hi_u32 v15, v10, v8
	v_addc_co_u32_e32 v9, vcc, v9, v16, vcc
	v_addc_co_u32_e32 v13, vcc, 0, v15, vcc
	v_mul_lo_u32 v8, v10, v8
	v_add_co_u32_e32 v8, vcc, v9, v8
	v_addc_co_u32_e32 v9, vcc, 0, v13, vcc
	v_add_co_u32_e32 v8, vcc, v7, v8
	v_addc_co_u32_e32 v9, vcc, v10, v9, vcc
	v_mul_lo_u32 v13, s27, v9
	v_mul_hi_u32 v14, s27, v8
	v_add_u32_e32 v13, v14, v13
	v_mul_lo_u32 v14, s28, v8
	v_add_u32_e32 v13, v13, v14
	v_mul_lo_u32 v15, s27, v8
	v_mul_hi_u32 v16, v9, v15
	v_mul_lo_u32 v17, v9, v15
	v_mul_lo_u32 v19, v8, v13
	v_mul_hi_u32 v15, v8, v15
	v_mul_hi_u32 v18, v8, v13
	v_add_co_u32_e32 v15, vcc, v15, v19
	v_addc_co_u32_e32 v18, vcc, 0, v18, vcc
	v_add_co_u32_e32 v15, vcc, v15, v17
	v_mul_hi_u32 v14, v9, v13
	v_addc_co_u32_e32 v15, vcc, v18, v16, vcc
	v_addc_co_u32_e32 v14, vcc, 0, v14, vcc
	v_mul_lo_u32 v13, v9, v13
	v_add_co_u32_e32 v13, vcc, v15, v13
	v_addc_co_u32_e32 v14, vcc, 0, v14, vcc
	v_add_co_u32_e32 v8, vcc, v8, v13
	v_addc_co_u32_e32 v9, vcc, v9, v14, vcc
	v_ashrrev_i32_e32 v13, 31, v3
	v_add_co_u32_e32 v2, vcc, v2, v13
	v_addc_co_u32_e32 v3, vcc, v3, v13, vcc
	v_xor_b32_e32 v15, v2, v13
	v_xor_b32_e32 v14, v3, v13
	v_mad_u64_u32 v[2:3], s[28:29], v15, v9, 0
	v_mul_hi_u32 v16, v15, v8
	v_add_co_u32_e32 v16, vcc, v16, v2
	v_addc_co_u32_e32 v17, vcc, 0, v3, vcc
	v_mad_u64_u32 v[2:3], s[28:29], v14, v9, 0
	v_mad_u64_u32 v[8:9], s[28:29], v14, v8, 0
	v_add_co_u32_e32 v8, vcc, v16, v8
	v_addc_co_u32_e32 v8, vcc, v17, v9, vcc
	v_addc_co_u32_e32 v3, vcc, 0, v3, vcc
	v_add_co_u32_e32 v2, vcc, v8, v2
	v_addc_co_u32_e32 v9, vcc, 0, v3, vcc
	v_mad_u64_u32 v[2:3], s[28:29], s21, v2, 0
	v_mov_b32_e32 v8, v3
	v_mad_u64_u32 v[8:9], s[28:29], s21, v9, v[8:9]
	v_sub_co_u32_e32 v2, vcc, v15, v2
	v_subb_co_u32_e32 v3, vcc, v14, v8, vcc
	v_subrev_co_u32_e32 v8, vcc, s21, v2
	v_subbrev_co_u32_e32 v9, vcc, 0, v3, vcc
	v_subrev_co_u32_e32 v14, vcc, s21, v8
	v_cmp_le_u32_e32 vcc, s21, v8
	v_cndmask_b32_e64 v15, 0, -1, vcc
	v_cmp_eq_u32_e32 vcc, 0, v9
	v_cndmask_b32_e32 v9, -1, v15, vcc
	v_cmp_le_u32_e32 vcc, s21, v2
	v_cndmask_b32_e64 v15, 0, -1, vcc
	v_cmp_eq_u32_e32 vcc, 0, v3
	v_cndmask_b32_e32 v3, -1, v15, vcc
	v_cmp_ne_u32_e32 vcc, 0, v9
	v_cndmask_b32_e32 v8, v8, v14, vcc
	v_cmp_ne_u32_e32 vcc, 0, v3
	v_cndmask_b32_e32 v2, v2, v8, vcc
	v_xor_b32_e32 v2, v2, v13
	v_sub_co_u32_e32 v8, vcc, v2, v13
                                        ; implicit-def: $vgpr2_vgpr3
	s_andn2_saveexec_b64 s[0:1], s[0:1]
	s_cbranch_execz .LBB2_24
.LBB2_27:                               ;   in Loop: Header=BB2_19 Depth=1
	v_cvt_f32_u32_e32 v3, s21
	s_sub_i32 s27, 0, s21
	v_rcp_iflag_f32_e32 v3, v3
	v_mul_f32_e32 v3, 0x4f7ffffe, v3
	v_cvt_u32_f32_e32 v3, v3
	v_mul_lo_u32 v8, s27, v3
	v_mul_hi_u32 v8, v3, v8
	v_add_u32_e32 v3, v3, v8
	v_mul_hi_u32 v3, v2, v3
	v_mul_lo_u32 v3, v3, s21
	v_sub_u32_e32 v2, v2, v3
	v_subrev_u32_e32 v3, s21, v2
	v_cmp_le_u32_e32 vcc, s21, v2
	v_cndmask_b32_e32 v2, v2, v3, vcc
	v_subrev_u32_e32 v3, s21, v2
	v_cmp_le_u32_e32 vcc, s21, v2
	v_cndmask_b32_e32 v8, v2, v3, vcc
	s_or_b64 exec, exec, s[0:1]
	s_andn2_b64 vcc, exec, s[16:17]
	s_cbranch_vccz .LBB2_25
.LBB2_28:                               ;   in Loop: Header=BB2_19 Depth=1
	v_mov_b32_e32 v2, 1.0
	s_andn2_b64 vcc, exec, s[22:23]
	s_cbranch_vccz .LBB2_17
.LBB2_29:                               ;   in Loop: Header=BB2_19 Depth=1
	v_mov_b32_e32 v3, 0
	s_branch .LBB2_18
.LBB2_30:                               ;   in Loop: Header=BB2_19 Depth=1
                                        ; implicit-def: $vgpr2_vgpr3
	s_branch .LBB2_21
.LBB2_31:
	ds_read_b32 v2, v4
	s_or_b64 exec, exec, s[0:1]
	s_and_saveexec_b64 s[0:1], vcc
	s_cbranch_execz .LBB2_11
.LBB2_32:
	ds_read_b32 v3, v4 offset:4
	s_or_b64 exec, exec, s[0:1]
	v_cmp_gt_u32_e32 vcc, 64, v0
	s_and_saveexec_b64 s[0:1], vcc
	s_cbranch_execz .LBB2_12
.LBB2_33:
	s_waitcnt lgkmcnt(0)
	ds_bpermute_b32 v4, v6, v2
	ds_bpermute_b32 v5, v6, v3
	s_waitcnt lgkmcnt(0)
	v_pk_add_f32 v[2:3], v[2:3], v[4:5]
	ds_bpermute_b32 v6, v7, v2
	ds_bpermute_b32 v7, v7, v3
	s_waitcnt lgkmcnt(0)
	v_pk_add_f32 v[2:3], v[2:3], v[6:7]
	;; [unrolled: 4-line block ×6, first 2 shown]
	s_or_b64 exec, exec, s[0:1]
	v_cmp_eq_u32_e32 vcc, 0, v0
	s_and_saveexec_b64 s[0:1], vcc
	s_cbranch_execnz .LBB2_13
	s_branch .LBB2_14
.LBB2_34:
	s_or_b64 exec, exec, s[4:5]
	s_mov_b64 s[0:1], 0
.LBB2_35:
	s_andn2_b64 vcc, exec, s[0:1]
	s_cbranch_vccnz .LBB2_51
; %bb.36:
	v_lshlrev_b32_e32 v11, 2, v5
	v_cmp_gt_u32_e32 vcc, s20, v11
	s_and_saveexec_b64 s[0:1], vcc
	s_cbranch_execz .LBB2_51
; %bb.37:
	v_cvt_f32_u32_e32 v0, s2
	s_cmp_lg_u64 s[10:11], 0
	s_mul_i32 s26, s7, s20
	s_cselect_b64 s[6:7], -1, 0
	v_rcp_iflag_f32_e32 v0, v0
	s_cmp_lg_u64 s[12:13], 0
	s_cselect_b64 s[14:15], -1, 0
	s_sub_i32 s0, 0, s2
	v_mul_f32_e32 v0, 0x4f7ffffe, v0
	v_cvt_u32_f32_e32 v0, v0
	v_mov_b32_e32 v9, 0
	s_mov_b64 s[4:5], 0
	s_lshl_b32 s27, s30, 12
	v_mul_lo_u32 v1, s0, v0
	v_mul_hi_u32 v1, v0, v1
	v_mov_b32_e32 v5, v4
	v_mov_b32_e32 v7, v6
	v_mov_b32_e32 v10, 1.0
	s_mov_b32 s16, 0
	s_mov_b32 s17, s3
	s_ashr_i32 s22, s3, 31
	v_add_u32_e32 v13, v0, v1
	v_cvt_f32_ubyte0_e32 v18, 0
	v_mov_b32_e32 v12, v9
	s_branch .LBB2_39
.LBB2_38:                               ;   in Loop: Header=BB2_39 Depth=1
	s_waitcnt vmcnt(0)
	v_pk_add_f32 v[0:1], v[0:1], v[4:5] neg_lo:[0,1] neg_hi:[0,1]
	v_pk_add_f32 v[2:3], v[2:3], v[4:5] neg_lo:[0,1] neg_hi:[0,1]
	v_mov_b32_e32 v8, s19
	v_add_co_u32_e32 v14, vcc, s18, v16
	v_pk_mul_f32 v[0:1], v[0:1], v[6:7]
	v_pk_mul_f32 v[2:3], v[2:3], v[6:7]
	v_addc_co_u32_e32 v15, vcc, v8, v17, vcc
	v_pk_fma_f32 v[0:1], v[0:1], v[10:11], v[12:13] op_sel_hi:[1,0,0]
	v_pk_fma_f32 v[2:3], v[2:3], v[10:11], v[12:13] op_sel_hi:[1,0,0]
	v_add_u32_e32 v11, s27, v11
	v_cmp_le_u32_e32 vcc, s20, v11
	s_or_b64 s[4:5], vcc, s[4:5]
	global_store_dwordx4 v[14:15], v[0:3], off
	s_andn2_b64 exec, exec, s[4:5]
	s_cbranch_execz .LBB2_51
.LBB2_39:                               ; =>This Inner Loop Header: Depth=1
	s_cmp_lg_u64 s[16:17], 0
	v_add_u32_e32 v8, s26, v11
	s_cbranch_scc0 .LBB2_50
; %bb.40:                               ;   in Loop: Header=BB2_39 Depth=1
	s_add_u32 s0, s2, s22
	s_mov_b32 s23, s22
	s_addc_u32 s1, s3, s22
	s_xor_b64 s[24:25], s[0:1], s[22:23]
	v_cvt_f32_u32_e32 v0, s24
	v_cvt_f32_u32_e32 v1, s25
	s_sub_u32 s0, 0, s24
	s_subb_u32 s1, 0, s25
	v_mac_f32_e32 v0, 0x4f800000, v1
	v_rcp_f32_e32 v0, v0
	v_mul_f32_e32 v0, 0x5f7ffffc, v0
	v_mul_f32_e32 v1, 0x2f800000, v0
	v_trunc_f32_e32 v1, v1
	v_mac_f32_e32 v0, 0xcf800000, v1
	v_cvt_u32_f32_e32 v1, v1
	v_cvt_u32_f32_e32 v0, v0
	v_mul_lo_u32 v2, s0, v1
	v_mul_hi_u32 v14, s0, v0
	v_mul_lo_u32 v3, s1, v0
	v_add_u32_e32 v2, v14, v2
	v_mul_lo_u32 v15, s0, v0
	v_add_u32_e32 v2, v2, v3
	v_mul_lo_u32 v14, v0, v2
	v_mul_hi_u32 v16, v0, v15
	v_mul_hi_u32 v3, v0, v2
	v_add_co_u32_e32 v14, vcc, v16, v14
	v_addc_co_u32_e32 v3, vcc, 0, v3, vcc
	v_mul_hi_u32 v17, v1, v15
	v_mul_lo_u32 v15, v1, v15
	v_add_co_u32_e32 v14, vcc, v14, v15
	v_mul_hi_u32 v16, v1, v2
	v_addc_co_u32_e32 v3, vcc, v3, v17, vcc
	v_addc_co_u32_e32 v14, vcc, 0, v16, vcc
	v_mul_lo_u32 v2, v1, v2
	v_add_co_u32_e32 v2, vcc, v3, v2
	v_addc_co_u32_e32 v3, vcc, 0, v14, vcc
	v_add_co_u32_e32 v0, vcc, v0, v2
	v_addc_co_u32_e32 v1, vcc, v1, v3, vcc
	v_mul_lo_u32 v2, s0, v1
	v_mul_hi_u32 v3, s0, v0
	v_add_u32_e32 v2, v3, v2
	v_mul_lo_u32 v3, s1, v0
	v_add_u32_e32 v2, v2, v3
	v_mul_lo_u32 v14, s0, v0
	v_mul_hi_u32 v15, v1, v14
	v_mul_lo_u32 v16, v1, v14
	v_mul_lo_u32 v19, v0, v2
	v_mul_hi_u32 v14, v0, v14
	v_mul_hi_u32 v17, v0, v2
	v_add_co_u32_e32 v14, vcc, v14, v19
	v_addc_co_u32_e32 v17, vcc, 0, v17, vcc
	v_add_co_u32_e32 v14, vcc, v14, v16
	v_mul_hi_u32 v3, v1, v2
	v_addc_co_u32_e32 v14, vcc, v17, v15, vcc
	v_addc_co_u32_e32 v3, vcc, 0, v3, vcc
	v_mul_lo_u32 v2, v1, v2
	v_add_co_u32_e32 v2, vcc, v14, v2
	v_addc_co_u32_e32 v3, vcc, 0, v3, vcc
	v_add_co_u32_e32 v2, vcc, v0, v2
	v_addc_co_u32_e32 v3, vcc, v1, v3, vcc
	v_mad_u64_u32 v[0:1], s[0:1], v8, v3, 0
	v_mul_hi_u32 v14, v8, v2
	v_add_co_u32_e32 v14, vcc, v14, v0
	v_addc_co_u32_e32 v15, vcc, 0, v1, vcc
	v_mad_u64_u32 v[0:1], s[0:1], 0, v3, 0
	v_mad_u64_u32 v[2:3], s[0:1], 0, v2, 0
	v_add_co_u32_e32 v2, vcc, v14, v2
	v_addc_co_u32_e32 v2, vcc, v15, v3, vcc
	v_addc_co_u32_e32 v1, vcc, 0, v1, vcc
	v_add_co_u32_e32 v2, vcc, v2, v0
	v_addc_co_u32_e32 v3, vcc, 0, v1, vcc
	v_mul_lo_u32 v14, s25, v2
	v_mul_lo_u32 v15, s24, v3
	v_mad_u64_u32 v[0:1], s[0:1], s24, v2, 0
	v_add3_u32 v1, v1, v15, v14
	v_sub_u32_e32 v14, 0, v1
	v_mov_b32_e32 v15, s25
	v_sub_co_u32_e32 v0, vcc, v8, v0
	v_subb_co_u32_e64 v14, s[0:1], v14, v15, vcc
	v_subrev_co_u32_e64 v15, s[0:1], s24, v0
	v_subbrev_co_u32_e64 v14, s[0:1], 0, v14, s[0:1]
	v_cmp_le_u32_e64 s[0:1], s25, v14
	v_cndmask_b32_e64 v16, 0, -1, s[0:1]
	v_cmp_le_u32_e64 s[0:1], s24, v15
	v_cndmask_b32_e64 v15, 0, -1, s[0:1]
	v_cmp_eq_u32_e64 s[0:1], s25, v14
	v_cndmask_b32_e64 v14, v16, v15, s[0:1]
	v_add_co_u32_e64 v15, s[0:1], 2, v2
	v_addc_co_u32_e64 v16, s[0:1], 0, v3, s[0:1]
	v_add_co_u32_e64 v17, s[0:1], 1, v2
	v_addc_co_u32_e64 v19, s[0:1], 0, v3, s[0:1]
	v_subb_co_u32_e32 v1, vcc, 0, v1, vcc
	v_cmp_ne_u32_e64 s[0:1], 0, v14
	v_cmp_le_u32_e32 vcc, s25, v1
	v_cndmask_b32_e64 v14, v19, v16, s[0:1]
	v_cndmask_b32_e64 v16, 0, -1, vcc
	v_cmp_le_u32_e32 vcc, s24, v0
	v_cndmask_b32_e64 v0, 0, -1, vcc
	v_cmp_eq_u32_e32 vcc, s25, v1
	v_cndmask_b32_e32 v0, v16, v0, vcc
	v_cmp_ne_u32_e32 vcc, 0, v0
	v_cndmask_b32_e64 v1, v17, v15, s[0:1]
	v_cndmask_b32_e32 v0, v3, v14, vcc
	v_cndmask_b32_e32 v1, v2, v1, vcc
	v_xor_b32_e32 v2, s22, v0
	v_xor_b32_e32 v0, s22, v1
	v_mov_b32_e32 v1, s22
	v_subrev_co_u32_e32 v0, vcc, s22, v0
	v_subb_co_u32_e32 v1, vcc, v2, v1, vcc
	s_cbranch_execnz .LBB2_42
.LBB2_41:                               ;   in Loop: Header=BB2_39 Depth=1
	v_mul_hi_u32 v0, v8, v13
	v_mul_lo_u32 v1, v0, s2
	v_sub_u32_e32 v1, v8, v1
	v_subrev_u32_e32 v2, s2, v1
	v_cmp_le_u32_e32 vcc, s2, v1
	v_cndmask_b32_e32 v1, v1, v2, vcc
	v_add_u32_e32 v2, 1, v0
	v_cndmask_b32_e32 v0, v0, v2, vcc
	v_add_u32_e32 v2, 1, v0
	v_cmp_le_u32_e32 vcc, s2, v1
	v_cndmask_b32_e32 v0, v0, v2, vcc
	v_mov_b32_e32 v1, v9
.LBB2_42:                               ;   in Loop: Header=BB2_39 Depth=1
	v_mov_b32_e32 v2, v9
	v_mov_b32_e32 v3, v1
	v_cmp_ne_u64_e32 vcc, 0, v[2:3]
                                        ; implicit-def: $vgpr14_vgpr15
	s_and_saveexec_b64 s[0:1], vcc
	s_xor_b64 s[0:1], exec, s[0:1]
	s_cbranch_execz .LBB2_44
; %bb.43:                               ;   in Loop: Header=BB2_39 Depth=1
	v_cvt_f32_u32_e32 v2, s21
	s_sub_u32 s23, 0, s21
	s_subb_u32 s24, 0, 0
	v_mac_f32_e32 v2, 0x4f800000, v18
	v_rcp_f32_e32 v2, v2
	v_mul_f32_e32 v2, 0x5f7ffffc, v2
	v_mul_f32_e32 v3, 0x2f800000, v2
	v_trunc_f32_e32 v3, v3
	v_mac_f32_e32 v2, 0xcf800000, v3
	v_cvt_u32_f32_e32 v3, v3
	v_cvt_u32_f32_e32 v2, v2
	v_mul_lo_u32 v14, s23, v3
	v_mul_hi_u32 v16, s23, v2
	v_mul_lo_u32 v15, s24, v2
	v_add_u32_e32 v14, v16, v14
	v_mul_lo_u32 v17, s23, v2
	v_add_u32_e32 v14, v14, v15
	v_mul_hi_u32 v16, v2, v17
	v_mul_lo_u32 v19, v2, v14
	v_mul_hi_u32 v15, v2, v14
	v_add_co_u32_e32 v16, vcc, v16, v19
	v_addc_co_u32_e32 v15, vcc, 0, v15, vcc
	v_mul_hi_u32 v20, v3, v17
	v_mul_lo_u32 v17, v3, v17
	v_add_co_u32_e32 v16, vcc, v16, v17
	v_mul_hi_u32 v19, v3, v14
	v_addc_co_u32_e32 v15, vcc, v15, v20, vcc
	v_addc_co_u32_e32 v16, vcc, 0, v19, vcc
	v_mul_lo_u32 v14, v3, v14
	v_add_co_u32_e32 v14, vcc, v15, v14
	v_addc_co_u32_e32 v15, vcc, 0, v16, vcc
	v_add_co_u32_e32 v2, vcc, v2, v14
	v_addc_co_u32_e32 v3, vcc, v3, v15, vcc
	v_mul_lo_u32 v14, s23, v3
	v_mul_hi_u32 v15, s23, v2
	v_add_u32_e32 v14, v15, v14
	v_mul_lo_u32 v15, s24, v2
	v_add_u32_e32 v14, v14, v15
	v_mul_lo_u32 v16, s23, v2
	v_mul_hi_u32 v17, v3, v16
	v_mul_lo_u32 v19, v3, v16
	v_mul_lo_u32 v21, v2, v14
	v_mul_hi_u32 v16, v2, v16
	v_mul_hi_u32 v20, v2, v14
	v_add_co_u32_e32 v16, vcc, v16, v21
	v_addc_co_u32_e32 v20, vcc, 0, v20, vcc
	v_add_co_u32_e32 v16, vcc, v16, v19
	v_mul_hi_u32 v15, v3, v14
	v_addc_co_u32_e32 v16, vcc, v20, v17, vcc
	v_addc_co_u32_e32 v15, vcc, 0, v15, vcc
	v_mul_lo_u32 v14, v3, v14
	v_add_co_u32_e32 v14, vcc, v16, v14
	v_addc_co_u32_e32 v15, vcc, 0, v15, vcc
	v_add_co_u32_e32 v2, vcc, v2, v14
	v_addc_co_u32_e32 v3, vcc, v3, v15, vcc
	v_ashrrev_i32_e32 v14, 31, v1
	v_add_co_u32_e32 v0, vcc, v0, v14
	v_addc_co_u32_e32 v1, vcc, v1, v14, vcc
	v_xor_b32_e32 v16, v0, v14
	v_xor_b32_e32 v15, v1, v14
	v_mad_u64_u32 v[0:1], s[24:25], v16, v3, 0
	v_mul_hi_u32 v17, v16, v2
	v_add_co_u32_e32 v17, vcc, v17, v0
	v_addc_co_u32_e32 v19, vcc, 0, v1, vcc
	v_mad_u64_u32 v[0:1], s[24:25], v15, v3, 0
	v_mad_u64_u32 v[2:3], s[24:25], v15, v2, 0
	v_add_co_u32_e32 v2, vcc, v17, v2
	v_addc_co_u32_e32 v2, vcc, v19, v3, vcc
	v_addc_co_u32_e32 v1, vcc, 0, v1, vcc
	v_add_co_u32_e32 v0, vcc, v2, v0
	v_addc_co_u32_e32 v3, vcc, 0, v1, vcc
	v_mad_u64_u32 v[0:1], s[24:25], s21, v0, 0
	v_mov_b32_e32 v2, v1
	v_mad_u64_u32 v[2:3], s[24:25], s21, v3, v[2:3]
	v_sub_co_u32_e32 v0, vcc, v16, v0
	v_subb_co_u32_e32 v1, vcc, v15, v2, vcc
	v_subrev_co_u32_e32 v2, vcc, s21, v0
	v_subbrev_co_u32_e32 v3, vcc, 0, v1, vcc
	v_subrev_co_u32_e32 v15, vcc, s21, v2
	v_cmp_le_u32_e32 vcc, s21, v2
	v_cndmask_b32_e64 v16, 0, -1, vcc
	v_cmp_eq_u32_e32 vcc, 0, v3
	v_cndmask_b32_e32 v3, -1, v16, vcc
	v_cmp_le_u32_e32 vcc, s21, v0
	v_cndmask_b32_e64 v16, 0, -1, vcc
	v_cmp_eq_u32_e32 vcc, 0, v1
	v_cndmask_b32_e32 v1, -1, v16, vcc
	v_cmp_ne_u32_e32 vcc, 0, v3
	v_cndmask_b32_e32 v2, v2, v15, vcc
	v_cmp_ne_u32_e32 vcc, 0, v1
	v_cndmask_b32_e32 v0, v0, v2, vcc
	v_xor_b32_e32 v0, v0, v14
	v_sub_co_u32_e32 v14, vcc, v0, v14
                                        ; implicit-def: $vgpr0_vgpr1
.LBB2_44:                               ;   in Loop: Header=BB2_39 Depth=1
	s_andn2_saveexec_b64 s[0:1], s[0:1]
	s_cbranch_execz .LBB2_46
; %bb.45:                               ;   in Loop: Header=BB2_39 Depth=1
	v_cvt_f32_u32_e32 v1, s21
	s_sub_i32 s23, 0, s21
	v_rcp_iflag_f32_e32 v1, v1
	v_mul_f32_e32 v1, 0x4f7ffffe, v1
	v_cvt_u32_f32_e32 v1, v1
	v_mul_lo_u32 v2, s23, v1
	v_mul_hi_u32 v2, v1, v2
	v_add_u32_e32 v1, v1, v2
	v_mul_hi_u32 v1, v0, v1
	v_mul_lo_u32 v1, v1, s21
	v_sub_u32_e32 v0, v0, v1
	v_subrev_u32_e32 v1, s21, v0
	v_cmp_le_u32_e32 vcc, s21, v0
	v_cndmask_b32_e32 v0, v0, v1, vcc
	v_subrev_u32_e32 v1, s21, v0
	v_cmp_le_u32_e32 vcc, s21, v0
	v_cndmask_b32_e32 v14, v0, v1, vcc
.LBB2_46:                               ;   in Loop: Header=BB2_39 Depth=1
	s_or_b64 exec, exec, s[0:1]
	v_lshlrev_b64 v[16:17], 2, v[8:9]
	v_mov_b32_e32 v1, s9
	v_add_co_u32_e32 v0, vcc, s8, v16
	v_addc_co_u32_e32 v1, vcc, v1, v17, vcc
	global_load_dwordx4 v[0:3], v[0:1], off
	s_andn2_b64 vcc, exec, s[6:7]
	s_cbranch_vccnz .LBB2_48
; %bb.47:                               ;   in Loop: Header=BB2_39 Depth=1
	v_mov_b32_e32 v15, v9
	v_lshlrev_b64 v[20:21], 2, v[14:15]
	v_mov_b32_e32 v8, s11
	v_add_co_u32_e32 v20, vcc, s10, v20
	v_addc_co_u32_e32 v21, vcc, v8, v21, vcc
	global_load_dword v10, v[20:21], off
.LBB2_48:                               ;   in Loop: Header=BB2_39 Depth=1
	s_andn2_b64 vcc, exec, s[14:15]
	s_cbranch_vccnz .LBB2_38
; %bb.49:                               ;   in Loop: Header=BB2_39 Depth=1
	v_mov_b32_e32 v15, v9
	v_lshlrev_b64 v[14:15], 2, v[14:15]
	v_mov_b32_e32 v8, s13
	v_add_co_u32_e32 v14, vcc, s12, v14
	v_addc_co_u32_e32 v15, vcc, v8, v15, vcc
	global_load_dword v12, v[14:15], off
	s_branch .LBB2_38
.LBB2_50:                               ;   in Loop: Header=BB2_39 Depth=1
                                        ; implicit-def: $vgpr0_vgpr1
	s_branch .LBB2_41
.LBB2_51:
	s_endpgm
.LBB2_52:
                                        ; implicit-def: $sgpr20_sgpr21
	s_branch .LBB2_2
	.section	.rodata,"a",@progbits
	.p2align	6, 0x0
	.amdhsa_kernel _ZN12_GLOBAL__N_130groupnorm_kernel_dispatch_downIfLj1024EEEvjjlfbPKT_S3_S3_PKfS5_PS1_
		.amdhsa_group_segment_fixed_size 128
		.amdhsa_private_segment_fixed_size 0
		.amdhsa_kernarg_size 328
		.amdhsa_user_sgpr_count 6
		.amdhsa_user_sgpr_private_segment_buffer 1
		.amdhsa_user_sgpr_dispatch_ptr 0
		.amdhsa_user_sgpr_queue_ptr 0
		.amdhsa_user_sgpr_kernarg_segment_ptr 1
		.amdhsa_user_sgpr_dispatch_id 0
		.amdhsa_user_sgpr_flat_scratch_init 0
		.amdhsa_user_sgpr_kernarg_preload_length 0
		.amdhsa_user_sgpr_kernarg_preload_offset 0
		.amdhsa_user_sgpr_private_segment_size 0
		.amdhsa_uses_dynamic_stack 0
		.amdhsa_system_sgpr_private_segment_wavefront_offset 0
		.amdhsa_system_sgpr_workgroup_id_x 1
		.amdhsa_system_sgpr_workgroup_id_y 1
		.amdhsa_system_sgpr_workgroup_id_z 0
		.amdhsa_system_sgpr_workgroup_info 0
		.amdhsa_system_vgpr_workitem_id 0
		.amdhsa_next_free_vgpr 22
		.amdhsa_next_free_sgpr 32
		.amdhsa_accum_offset 24
		.amdhsa_reserve_vcc 1
		.amdhsa_reserve_flat_scratch 0
		.amdhsa_float_round_mode_32 0
		.amdhsa_float_round_mode_16_64 0
		.amdhsa_float_denorm_mode_32 3
		.amdhsa_float_denorm_mode_16_64 3
		.amdhsa_dx10_clamp 1
		.amdhsa_ieee_mode 1
		.amdhsa_fp16_overflow 0
		.amdhsa_tg_split 0
		.amdhsa_exception_fp_ieee_invalid_op 0
		.amdhsa_exception_fp_denorm_src 0
		.amdhsa_exception_fp_ieee_div_zero 0
		.amdhsa_exception_fp_ieee_overflow 0
		.amdhsa_exception_fp_ieee_underflow 0
		.amdhsa_exception_fp_ieee_inexact 0
		.amdhsa_exception_int_div_zero 0
	.end_amdhsa_kernel
	.section	.text._ZN12_GLOBAL__N_130groupnorm_kernel_dispatch_downIfLj1024EEEvjjlfbPKT_S3_S3_PKfS5_PS1_,"axG",@progbits,_ZN12_GLOBAL__N_130groupnorm_kernel_dispatch_downIfLj1024EEEvjjlfbPKT_S3_S3_PKfS5_PS1_,comdat
.Lfunc_end2:
	.size	_ZN12_GLOBAL__N_130groupnorm_kernel_dispatch_downIfLj1024EEEvjjlfbPKT_S3_S3_PKfS5_PS1_, .Lfunc_end2-_ZN12_GLOBAL__N_130groupnorm_kernel_dispatch_downIfLj1024EEEvjjlfbPKT_S3_S3_PKfS5_PS1_
                                        ; -- End function
	.section	.AMDGPU.csdata,"",@progbits
; Kernel info:
; codeLenInByte = 5212
; NumSgprs: 36
; NumVgprs: 22
; NumAgprs: 0
; TotalNumVgprs: 22
; ScratchSize: 0
; MemoryBound: 0
; FloatMode: 240
; IeeeMode: 1
; LDSByteSize: 128 bytes/workgroup (compile time only)
; SGPRBlocks: 4
; VGPRBlocks: 2
; NumSGPRsForWavesPerEU: 36
; NumVGPRsForWavesPerEU: 22
; AccumOffset: 24
; Occupancy: 8
; WaveLimiterHint : 0
; COMPUTE_PGM_RSRC2:SCRATCH_EN: 0
; COMPUTE_PGM_RSRC2:USER_SGPR: 6
; COMPUTE_PGM_RSRC2:TRAP_HANDLER: 0
; COMPUTE_PGM_RSRC2:TGID_X_EN: 1
; COMPUTE_PGM_RSRC2:TGID_Y_EN: 1
; COMPUTE_PGM_RSRC2:TGID_Z_EN: 0
; COMPUTE_PGM_RSRC2:TIDIG_COMP_CNT: 0
; COMPUTE_PGM_RSRC3_GFX90A:ACCUM_OFFSET: 5
; COMPUTE_PGM_RSRC3_GFX90A:TG_SPLIT: 0
	.section	.text._ZN12_GLOBAL__N_128groupnorm_kernel_dispatch_upI6__halfLj1024EEEvjjlbPKT_PfS5_,"axG",@progbits,_ZN12_GLOBAL__N_128groupnorm_kernel_dispatch_upI6__halfLj1024EEEvjjlbPKT_PfS5_,comdat
	.globl	_ZN12_GLOBAL__N_128groupnorm_kernel_dispatch_upI6__halfLj1024EEEvjjlbPKT_PfS5_ ; -- Begin function _ZN12_GLOBAL__N_128groupnorm_kernel_dispatch_upI6__halfLj1024EEEvjjlbPKT_PfS5_
	.p2align	8
	.type	_ZN12_GLOBAL__N_128groupnorm_kernel_dispatch_upI6__halfLj1024EEEvjjlbPKT_PfS5_,@function
_ZN12_GLOBAL__N_128groupnorm_kernel_dispatch_upI6__halfLj1024EEEvjjlbPKT_PfS5_: ; @_ZN12_GLOBAL__N_128groupnorm_kernel_dispatch_upI6__halfLj1024EEEvjjlbPKT_PfS5_
; %bb.0:
	s_load_dword s16, s[4:5], 0x30
	s_add_u32 s8, s4, 48
	s_addc_u32 s9, s5, 0
	v_mov_b32_e32 v1, 0
	s_mov_b32 s10, 0
	s_waitcnt lgkmcnt(0)
	s_cmp_lt_u32 s6, s16
	s_cselect_b32 s0, 12, 18
	s_add_u32 s0, s8, s0
	s_addc_u32 s1, s9, 0
	global_load_ushort v1, v1, s[0:1]
	s_load_dwordx4 s[0:3], s[4:5], 0x0
	s_waitcnt lgkmcnt(0)
	s_mul_i32 s3, s1, s3
	s_mul_hi_u32 s11, s1, s2
	s_add_i32 s11, s11, s3
	s_cmp_lg_u64 s[10:11], 0
	s_mul_i32 s1, s1, s2
	s_cbranch_scc0 .LBB3_26
; %bb.1:
	v_cvt_f32_u32_e32 v2, s0
	v_cvt_f32_ubyte0_e32 v3, 0
	s_sub_u32 s10, 0, s0
	s_subb_u32 s12, 0, 0
	v_madmk_f32 v2, v3, 0x4f800000, v2
	v_rcp_f32_e32 v2, v2
	v_mul_f32_e32 v2, 0x5f7ffffc, v2
	v_mul_f32_e32 v3, 0x2f800000, v2
	v_trunc_f32_e32 v3, v3
	v_madmk_f32 v2, v3, 0xcf800000, v2
	v_cvt_u32_f32_e32 v3, v3
	v_cvt_u32_f32_e32 v2, v2
	v_readfirstlane_b32 s13, v3
	v_readfirstlane_b32 s14, v2
	s_mul_i32 s15, s10, s13
	s_mul_hi_u32 s18, s10, s14
	s_mul_i32 s17, s12, s14
	s_add_i32 s15, s18, s15
	s_add_i32 s15, s15, s17
	s_mul_i32 s19, s10, s14
	s_mul_hi_u32 s17, s14, s15
	s_mul_i32 s18, s14, s15
	s_mul_hi_u32 s14, s14, s19
	s_add_u32 s14, s14, s18
	s_addc_u32 s17, 0, s17
	s_mul_hi_u32 s20, s13, s19
	s_mul_i32 s19, s13, s19
	s_add_u32 s14, s14, s19
	s_mul_hi_u32 s18, s13, s15
	s_addc_u32 s14, s17, s20
	s_addc_u32 s17, s18, 0
	s_mul_i32 s15, s13, s15
	s_add_u32 s14, s14, s15
	s_addc_u32 s15, 0, s17
	v_add_co_u32_e32 v2, vcc, s14, v2
	s_cmp_lg_u64 vcc, 0
	s_addc_u32 s13, s13, s15
	v_readfirstlane_b32 s15, v2
	s_mul_i32 s14, s10, s13
	s_mul_hi_u32 s17, s10, s15
	s_add_i32 s14, s17, s14
	s_mul_i32 s12, s12, s15
	s_add_i32 s14, s14, s12
	s_mul_i32 s10, s10, s15
	s_mul_hi_u32 s17, s13, s10
	s_mul_i32 s18, s13, s10
	s_mul_i32 s20, s15, s14
	s_mul_hi_u32 s10, s15, s10
	s_mul_hi_u32 s19, s15, s14
	s_add_u32 s10, s10, s20
	s_addc_u32 s15, 0, s19
	s_add_u32 s10, s10, s18
	s_mul_hi_u32 s12, s13, s14
	s_addc_u32 s10, s15, s17
	s_addc_u32 s12, s12, 0
	s_mul_i32 s14, s13, s14
	s_add_u32 s10, s10, s14
	s_addc_u32 s12, 0, s12
	v_add_co_u32_e32 v2, vcc, s10, v2
	s_cmp_lg_u64 vcc, 0
	s_addc_u32 s14, s13, s12
	s_ashr_i32 s12, s11, 31
	s_add_u32 s10, s1, s12
	s_mov_b32 s13, s12
	s_addc_u32 s11, s11, s12
	s_xor_b64 s[10:11], s[10:11], s[12:13]
	v_readfirstlane_b32 s18, v2
	s_mul_i32 s17, s10, s14
	s_mul_hi_u32 s19, s10, s18
	s_mul_hi_u32 s15, s10, s14
	s_add_u32 s17, s19, s17
	s_addc_u32 s15, 0, s15
	s_mul_hi_u32 s20, s11, s18
	s_mul_i32 s18, s11, s18
	s_add_u32 s17, s17, s18
	s_mul_hi_u32 s19, s11, s14
	s_addc_u32 s15, s15, s20
	s_addc_u32 s17, s19, 0
	s_mul_i32 s14, s11, s14
	s_add_u32 s14, s15, s14
	s_addc_u32 s15, 0, s17
	s_add_u32 s17, s14, 1
	s_addc_u32 s18, s15, 0
	s_add_u32 s19, s14, 2
	s_mul_i32 s21, s0, s15
	s_mul_hi_u32 s22, s0, s14
	s_addc_u32 s20, s15, 0
	s_add_i32 s22, s22, s21
	s_mul_i32 s21, s0, s14
	v_mov_b32_e32 v2, s21
	v_sub_co_u32_e32 v2, vcc, s10, v2
	s_cmp_lg_u64 vcc, 0
	s_subb_u32 s10, s11, s22
	v_subrev_co_u32_e32 v3, vcc, s0, v2
	s_cmp_lg_u64 vcc, 0
	s_subb_u32 s11, s10, 0
	v_readfirstlane_b32 s21, v3
	s_cmp_ge_u32 s21, s0
	s_cselect_b32 s21, -1, 0
	s_cmp_eq_u32 s11, 0
	s_cselect_b32 s11, s21, -1
	s_cmp_lg_u32 s11, 0
	s_cselect_b32 s11, s20, s18
	v_readfirstlane_b32 s18, v2
	s_cselect_b32 s17, s19, s17
	s_cmp_ge_u32 s18, s0
	s_cselect_b32 s18, -1, 0
	s_cmp_eq_u32 s10, 0
	s_cselect_b32 s10, s18, -1
	s_cmp_lg_u32 s10, 0
	s_cselect_b32 s11, s11, s15
	s_cselect_b32 s10, s17, s14
	s_xor_b64 s[10:11], s[10:11], s[12:13]
	s_sub_u32 s10, s10, s12
	s_cbranch_execnz .LBB3_3
.LBB3_2:
	v_cvt_f32_u32_e32 v2, s0
	s_sub_i32 s2, 0, s0
	v_rcp_iflag_f32_e32 v2, v2
	v_mul_f32_e32 v2, 0x4f7ffffe, v2
	v_cvt_u32_f32_e32 v2, v2
	v_readfirstlane_b32 s3, v2
	s_mul_i32 s2, s2, s3
	s_mul_hi_u32 s2, s3, s2
	s_add_i32 s3, s3, s2
	s_mul_hi_u32 s2, s1, s3
	s_mul_i32 s10, s2, s0
	s_sub_i32 s1, s1, s10
	s_add_i32 s3, s2, 1
	s_sub_i32 s10, s1, s0
	s_cmp_ge_u32 s1, s0
	s_cselect_b32 s2, s3, s2
	s_cselect_b32 s1, s10, s1
	s_add_i32 s3, s2, 1
	s_cmp_ge_u32 s1, s0
	s_cselect_b32 s10, s3, s2
.LBB3_3:
	s_load_dword s11, s[4:5], 0x10
	s_load_dwordx4 s[0:3], s[4:5], 0x18
	s_waitcnt vmcnt(0)
	v_and_b32_e32 v1, 0xffff, v1
	v_mul_lo_u32 v1, s6, v1
	v_add_u32_e32 v1, v1, v0
	s_waitcnt lgkmcnt(0)
	s_bitcmp1_b32 s11, 0
	s_cselect_b64 s[12:13], -1, 0
	s_and_b64 vcc, exec, s[12:13]
	s_cbranch_vccnz .LBB3_9
; %bb.4:
	v_mov_b32_e32 v3, 0
	v_cmp_gt_u32_e32 vcc, s10, v1
	v_mov_b32_e32 v2, v3
	s_and_saveexec_b64 s[12:13], vcc
	s_cbranch_execz .LBB3_8
; %bb.5:
	s_load_dword s17, s[8:9], 0x10
	v_mov_b32_e32 v2, 0
	s_mul_i32 s11, s7, s10
	s_mov_b64 s[14:15], 0
	v_mov_b32_e32 v5, 0
	s_waitcnt lgkmcnt(0)
	s_lshr_b32 s17, s17, 16
	s_cmp_lg_u32 s17, 0
	s_cselect_b64 s[18:19], -1, 0
	s_cmp_lg_u64 s[18:19], 0
	s_addc_u32 s17, s16, 0
	s_lshl_b32 s17, s17, 10
	v_mov_b32_e32 v6, s1
	v_mov_b32_e32 v7, v1
	;; [unrolled: 1-line block ×3, first 2 shown]
.LBB3_6:                                ; =>This Inner Loop Header: Depth=1
	v_add_u32_e32 v4, s11, v7
	v_lshlrev_b64 v[8:9], 1, v[4:5]
	v_add_co_u32_e32 v8, vcc, s0, v8
	v_addc_co_u32_e32 v9, vcc, v6, v9, vcc
	global_load_ushort v4, v[8:9], off
	v_add_u32_e32 v7, s17, v7
	v_cmp_le_u32_e32 vcc, s10, v7
	s_or_b64 s[14:15], vcc, s[14:15]
	s_waitcnt vmcnt(0)
	v_cvt_f32_f16_e32 v8, v4
	v_mul_f32_e32 v9, v8, v8
	v_pk_add_f32 v[2:3], v[2:3], v[8:9]
	s_andn2_b64 exec, exec, s[14:15]
	s_cbranch_execnz .LBB3_6
; %bb.7:
	s_or_b64 exec, exec, s[14:15]
.LBB3_8:
	s_or_b64 exec, exec, s[12:13]
	s_cbranch_execz .LBB3_10
	s_branch .LBB3_15
.LBB3_9:
                                        ; implicit-def: $vgpr3
.LBB3_10:
	v_lshlrev_b32_e32 v1, 2, v1
	v_mov_b32_e32 v3, 0
	v_cmp_gt_u32_e32 vcc, s10, v1
	v_mov_b32_e32 v2, v3
	s_and_saveexec_b64 s[12:13], vcc
	s_cbranch_execz .LBB3_14
; %bb.11:
	s_load_dword s14, s[8:9], 0x10
	v_mov_b32_e32 v2, 0
	s_mul_i32 s11, s7, s10
	s_mov_b64 s[8:9], 0
	v_mov_b32_e32 v5, 0
	s_waitcnt lgkmcnt(0)
	s_lshr_b32 s14, s14, 16
	s_cmp_lg_u32 s14, 0
	s_cselect_b64 s[14:15], -1, 0
	s_cmp_lg_u64 s[14:15], 0
	s_addc_u32 s14, s16, 0
	s_lshl_b32 s14, s14, 12
	v_mov_b32_e32 v6, s1
	v_mov_b32_e32 v3, v2
.LBB3_12:                               ; =>This Inner Loop Header: Depth=1
	v_add_u32_e32 v4, s11, v1
	v_lshlrev_b64 v[8:9], 1, v[4:5]
	v_add_co_u32_e32 v8, vcc, s0, v8
	v_addc_co_u32_e32 v9, vcc, v6, v9, vcc
	global_load_dwordx2 v[8:9], v[8:9], off
	v_add_u32_e32 v1, s14, v1
	v_cmp_le_u32_e32 vcc, s10, v1
	s_or_b64 s[8:9], vcc, s[8:9]
	s_waitcnt vmcnt(0)
	v_cvt_f32_f16_e32 v10, v8
	v_cvt_f32_f16_sdwa v8, v8 dst_sel:DWORD dst_unused:UNUSED_PAD src0_sel:WORD_1
	v_cvt_f32_f16_e32 v12, v9
	v_cvt_f32_f16_sdwa v14, v9 dst_sel:DWORD dst_unused:UNUSED_PAD src0_sel:WORD_1
	v_mul_f32_e32 v11, v10, v10
	v_mul_f32_e32 v9, v8, v8
	v_pk_add_f32 v[2:3], v[2:3], v[10:11]
	v_mul_f32_e32 v13, v12, v12
	v_pk_add_f32 v[2:3], v[2:3], v[8:9]
	;; [unrolled: 2-line block ×3, first 2 shown]
	v_pk_add_f32 v[2:3], v[2:3], v[14:15]
	s_andn2_b64 exec, exec, s[8:9]
	s_cbranch_execnz .LBB3_12
; %bb.13:
	s_or_b64 exec, exec, s[8:9]
.LBB3_14:
	s_or_b64 exec, exec, s[12:13]
.LBB3_15:
	v_mbcnt_lo_u32_b32 v1, -1, 0
	v_mbcnt_hi_u32_b32 v13, -1, v1
	v_and_b32_e32 v14, 63, v13
	v_cmp_gt_u32_e32 vcc, 32, v14
	v_cndmask_b32_e64 v1, 0, 1, vcc
	v_lshlrev_b32_e32 v1, 5, v1
	v_add_lshl_u32 v1, v1, v13, 2
	ds_bpermute_b32 v4, v1, v2
	ds_bpermute_b32 v5, v1, v3
	v_cmp_gt_u32_e32 vcc, 48, v14
	v_cndmask_b32_e64 v6, 0, 1, vcc
	v_lshlrev_b32_e32 v6, 4, v6
	v_add_lshl_u32 v6, v6, v13, 2
	s_waitcnt lgkmcnt(0)
	v_pk_add_f32 v[2:3], v[2:3], v[4:5]
	ds_bpermute_b32 v8, v6, v2
	ds_bpermute_b32 v9, v6, v3
	v_cmp_gt_u32_e32 vcc, 56, v14
	v_cndmask_b32_e64 v4, 0, 1, vcc
	v_lshlrev_b32_e32 v4, 3, v4
	v_add_lshl_u32 v7, v4, v13, 2
	s_waitcnt lgkmcnt(0)
	v_pk_add_f32 v[2:3], v[2:3], v[8:9]
	;; [unrolled: 8-line block ×4, first 2 shown]
	ds_bpermute_b32 v10, v9, v2
	ds_bpermute_b32 v11, v9, v3
	v_cmp_ne_u32_e32 vcc, 63, v14
	v_addc_co_u32_e32 v4, vcc, 0, v13, vcc
	s_waitcnt lgkmcnt(0)
	v_pk_add_f32 v[2:3], v[2:3], v[10:11]
	v_lshlrev_b32_e32 v10, 2, v4
	ds_bpermute_b32 v4, v10, v2
	ds_bpermute_b32 v5, v10, v3
	v_and_b32_e32 v11, 63, v0
	v_cmp_eq_u32_e32 vcc, 0, v11
	s_and_saveexec_b64 s[0:1], vcc
	s_cbranch_execz .LBB3_17
; %bb.16:
	v_lshrrev_b32_e32 v12, 3, v0
	s_waitcnt lgkmcnt(0)
	v_pk_add_f32 v[2:3], v[2:3], v[4:5]
	ds_write2_b32 v12, v2, v3 offset1:1
.LBB3_17:
	s_or_b64 exec, exec, s[0:1]
	v_cmp_gt_u32_e32 vcc, 16, v0
	s_waitcnt lgkmcnt(1)
	v_lshlrev_b32_e32 v4, 3, v11
	v_mov_b32_e32 v3, 0
	v_mov_b32_e32 v2, 0
	s_waitcnt lgkmcnt(0)
	s_barrier
	s_and_saveexec_b64 s[0:1], vcc
	s_cbranch_execnz .LBB3_24
; %bb.18:
	s_or_b64 exec, exec, s[0:1]
	s_and_saveexec_b64 s[0:1], vcc
	s_cbranch_execnz .LBB3_25
.LBB3_19:
	s_or_b64 exec, exec, s[0:1]
	v_cmp_gt_u32_e32 vcc, 64, v0
	s_and_saveexec_b64 s[0:1], vcc
	s_cbranch_execz .LBB3_21
.LBB3_20:
	s_waitcnt lgkmcnt(0)
	ds_bpermute_b32 v4, v1, v2
	ds_bpermute_b32 v5, v1, v3
	s_waitcnt lgkmcnt(0)
	v_pk_add_f32 v[2:3], v[2:3], v[4:5]
	ds_bpermute_b32 v12, v6, v2
	ds_bpermute_b32 v13, v6, v3
	s_waitcnt lgkmcnt(0)
	v_pk_add_f32 v[2:3], v[2:3], v[12:13]
	;; [unrolled: 4-line block ×6, first 2 shown]
.LBB3_21:
	s_or_b64 exec, exec, s[0:1]
	s_mov_b32 s1, 0
	v_cmp_eq_u32_e32 vcc, 0, v0
	s_and_saveexec_b64 s[8:9], vcc
	s_cbranch_execz .LBB3_23
; %bb.22:
	s_load_dwordx2 s[4:5], s[4:5], 0x28
	s_mul_i32 s0, s16, s7
	s_add_i32 s0, s0, s6
	s_lshl_b64 s[0:1], s[0:1], 2
	s_add_u32 s2, s2, s0
	s_addc_u32 s3, s3, s1
	s_waitcnt lgkmcnt(0)
	s_add_u32 s0, s4, s0
	v_mov_b32_e32 v0, 0
	s_addc_u32 s1, s5, s1
	global_store_dword v0, v2, s[2:3]
	global_store_dword v0, v3, s[0:1]
.LBB3_23:
	s_endpgm
.LBB3_24:
	ds_read_b32 v2, v4
	s_or_b64 exec, exec, s[0:1]
	s_and_saveexec_b64 s[0:1], vcc
	s_cbranch_execz .LBB3_19
.LBB3_25:
	ds_read_b32 v3, v4 offset:4
	s_or_b64 exec, exec, s[0:1]
	v_cmp_gt_u32_e32 vcc, 64, v0
	s_and_saveexec_b64 s[0:1], vcc
	s_cbranch_execnz .LBB3_20
	s_branch .LBB3_21
.LBB3_26:
                                        ; implicit-def: $sgpr10_sgpr11
	s_branch .LBB3_2
	.section	.rodata,"a",@progbits
	.p2align	6, 0x0
	.amdhsa_kernel _ZN12_GLOBAL__N_128groupnorm_kernel_dispatch_upI6__halfLj1024EEEvjjlbPKT_PfS5_
		.amdhsa_group_segment_fixed_size 128
		.amdhsa_private_segment_fixed_size 0
		.amdhsa_kernarg_size 304
		.amdhsa_user_sgpr_count 6
		.amdhsa_user_sgpr_private_segment_buffer 1
		.amdhsa_user_sgpr_dispatch_ptr 0
		.amdhsa_user_sgpr_queue_ptr 0
		.amdhsa_user_sgpr_kernarg_segment_ptr 1
		.amdhsa_user_sgpr_dispatch_id 0
		.amdhsa_user_sgpr_flat_scratch_init 0
		.amdhsa_user_sgpr_kernarg_preload_length 0
		.amdhsa_user_sgpr_kernarg_preload_offset 0
		.amdhsa_user_sgpr_private_segment_size 0
		.amdhsa_uses_dynamic_stack 0
		.amdhsa_system_sgpr_private_segment_wavefront_offset 0
		.amdhsa_system_sgpr_workgroup_id_x 1
		.amdhsa_system_sgpr_workgroup_id_y 1
		.amdhsa_system_sgpr_workgroup_id_z 0
		.amdhsa_system_sgpr_workgroup_info 0
		.amdhsa_system_vgpr_workitem_id 0
		.amdhsa_next_free_vgpr 16
		.amdhsa_next_free_sgpr 23
		.amdhsa_accum_offset 16
		.amdhsa_reserve_vcc 1
		.amdhsa_reserve_flat_scratch 0
		.amdhsa_float_round_mode_32 0
		.amdhsa_float_round_mode_16_64 0
		.amdhsa_float_denorm_mode_32 3
		.amdhsa_float_denorm_mode_16_64 3
		.amdhsa_dx10_clamp 1
		.amdhsa_ieee_mode 1
		.amdhsa_fp16_overflow 0
		.amdhsa_tg_split 0
		.amdhsa_exception_fp_ieee_invalid_op 0
		.amdhsa_exception_fp_denorm_src 0
		.amdhsa_exception_fp_ieee_div_zero 0
		.amdhsa_exception_fp_ieee_overflow 0
		.amdhsa_exception_fp_ieee_underflow 0
		.amdhsa_exception_fp_ieee_inexact 0
		.amdhsa_exception_int_div_zero 0
	.end_amdhsa_kernel
	.section	.text._ZN12_GLOBAL__N_128groupnorm_kernel_dispatch_upI6__halfLj1024EEEvjjlbPKT_PfS5_,"axG",@progbits,_ZN12_GLOBAL__N_128groupnorm_kernel_dispatch_upI6__halfLj1024EEEvjjlbPKT_PfS5_,comdat
.Lfunc_end3:
	.size	_ZN12_GLOBAL__N_128groupnorm_kernel_dispatch_upI6__halfLj1024EEEvjjlbPKT_PfS5_, .Lfunc_end3-_ZN12_GLOBAL__N_128groupnorm_kernel_dispatch_upI6__halfLj1024EEEvjjlbPKT_PfS5_
                                        ; -- End function
	.section	.AMDGPU.csdata,"",@progbits
; Kernel info:
; codeLenInByte = 1824
; NumSgprs: 27
; NumVgprs: 16
; NumAgprs: 0
; TotalNumVgprs: 16
; ScratchSize: 0
; MemoryBound: 0
; FloatMode: 240
; IeeeMode: 1
; LDSByteSize: 128 bytes/workgroup (compile time only)
; SGPRBlocks: 3
; VGPRBlocks: 1
; NumSGPRsForWavesPerEU: 27
; NumVGPRsForWavesPerEU: 16
; AccumOffset: 16
; Occupancy: 8
; WaveLimiterHint : 0
; COMPUTE_PGM_RSRC2:SCRATCH_EN: 0
; COMPUTE_PGM_RSRC2:USER_SGPR: 6
; COMPUTE_PGM_RSRC2:TRAP_HANDLER: 0
; COMPUTE_PGM_RSRC2:TGID_X_EN: 1
; COMPUTE_PGM_RSRC2:TGID_Y_EN: 1
; COMPUTE_PGM_RSRC2:TGID_Z_EN: 0
; COMPUTE_PGM_RSRC2:TIDIG_COMP_CNT: 0
; COMPUTE_PGM_RSRC3_GFX90A:ACCUM_OFFSET: 3
; COMPUTE_PGM_RSRC3_GFX90A:TG_SPLIT: 0
	.section	.text._ZN12_GLOBAL__N_130groupnorm_kernel_dispatch_downI6__halfLj1024EEEvjjlfbPKT_S4_S4_PKfS6_PS2_,"axG",@progbits,_ZN12_GLOBAL__N_130groupnorm_kernel_dispatch_downI6__halfLj1024EEEvjjlfbPKT_S4_S4_PKfS6_PS2_,comdat
	.globl	_ZN12_GLOBAL__N_130groupnorm_kernel_dispatch_downI6__halfLj1024EEEvjjlfbPKT_S4_S4_PKfS6_PS2_ ; -- Begin function _ZN12_GLOBAL__N_130groupnorm_kernel_dispatch_downI6__halfLj1024EEEvjjlfbPKT_S4_S4_PKfS6_PS2_
	.p2align	8
	.type	_ZN12_GLOBAL__N_130groupnorm_kernel_dispatch_downI6__halfLj1024EEEvjjlfbPKT_S4_S4_PKfS6_PS2_,@function
_ZN12_GLOBAL__N_130groupnorm_kernel_dispatch_downI6__halfLj1024EEEvjjlfbPKT_S4_S4_PKfS6_PS2_: ; @_ZN12_GLOBAL__N_130groupnorm_kernel_dispatch_downI6__halfLj1024EEEvjjlfbPKT_S4_S4_PKfS6_PS2_
; %bb.0:
	s_load_dword s30, s[4:5], 0x48
	s_add_u32 s0, s4, 0x48
	s_addc_u32 s1, s5, 0
	v_mov_b32_e32 v1, 0
	s_mov_b32 s10, 0
	s_waitcnt lgkmcnt(0)
	s_cmp_lt_u32 s6, s30
	s_cselect_b32 s2, 12, 18
	s_add_u32 s0, s0, s2
	s_addc_u32 s1, s1, 0
	global_load_ushort v1, v1, s[0:1]
	s_load_dwordx4 s[0:3], s[4:5], 0x0
	s_waitcnt lgkmcnt(0)
	s_mul_i32 s8, s1, s3
	s_mul_hi_u32 s9, s1, s2
	s_add_i32 s11, s9, s8
	s_cmp_lg_u64 s[10:11], 0
	s_mul_i32 s10, s1, s2
	s_cbranch_scc0 .LBB4_52
; %bb.1:
	v_cvt_f32_u32_e32 v2, s0
	v_cvt_f32_ubyte0_e32 v3, 0
	s_sub_u32 s12, 0, s0
	s_subb_u32 s13, 0, 0
	v_madmk_f32 v2, v3, 0x4f800000, v2
	v_rcp_f32_e32 v2, v2
	v_mul_f32_e32 v2, 0x5f7ffffc, v2
	v_mul_f32_e32 v3, 0x2f800000, v2
	v_trunc_f32_e32 v3, v3
	v_madmk_f32 v2, v3, 0xcf800000, v2
	v_cvt_u32_f32_e32 v3, v3
	v_cvt_u32_f32_e32 v2, v2
	v_readfirstlane_b32 s14, v3
	v_readfirstlane_b32 s15, v2
	s_mul_i32 s16, s12, s14
	s_mul_hi_u32 s18, s12, s15
	s_mul_i32 s17, s13, s15
	s_add_i32 s16, s18, s16
	s_add_i32 s16, s16, s17
	s_mul_i32 s19, s12, s15
	s_mul_hi_u32 s17, s15, s16
	s_mul_i32 s18, s15, s16
	s_mul_hi_u32 s15, s15, s19
	s_add_u32 s15, s15, s18
	s_addc_u32 s17, 0, s17
	s_mul_hi_u32 s20, s14, s19
	s_mul_i32 s19, s14, s19
	s_add_u32 s15, s15, s19
	s_mul_hi_u32 s18, s14, s16
	s_addc_u32 s15, s17, s20
	s_addc_u32 s17, s18, 0
	s_mul_i32 s16, s14, s16
	s_add_u32 s15, s15, s16
	s_addc_u32 s16, 0, s17
	v_add_co_u32_e32 v2, vcc, s15, v2
	s_cmp_lg_u64 vcc, 0
	s_addc_u32 s14, s14, s16
	v_readfirstlane_b32 s16, v2
	s_mul_i32 s15, s12, s14
	s_mul_hi_u32 s17, s12, s16
	s_add_i32 s15, s17, s15
	s_mul_i32 s13, s13, s16
	s_add_i32 s15, s15, s13
	s_mul_i32 s12, s12, s16
	s_mul_hi_u32 s17, s14, s12
	s_mul_i32 s18, s14, s12
	s_mul_i32 s20, s16, s15
	s_mul_hi_u32 s12, s16, s12
	s_mul_hi_u32 s19, s16, s15
	s_add_u32 s12, s12, s20
	s_addc_u32 s16, 0, s19
	s_add_u32 s12, s12, s18
	s_mul_hi_u32 s13, s14, s15
	s_addc_u32 s12, s16, s17
	s_addc_u32 s13, s13, 0
	s_mul_i32 s15, s14, s15
	s_add_u32 s12, s12, s15
	s_addc_u32 s13, 0, s13
	v_add_co_u32_e32 v2, vcc, s12, v2
	s_cmp_lg_u64 vcc, 0
	s_addc_u32 s16, s14, s13
	s_ashr_i32 s12, s11, 31
	s_add_u32 s14, s10, s12
	s_mov_b32 s13, s12
	s_addc_u32 s15, s11, s12
	s_xor_b64 s[14:15], s[14:15], s[12:13]
	v_readfirstlane_b32 s18, v2
	s_mul_i32 s17, s14, s16
	s_mul_hi_u32 s19, s14, s18
	s_mul_hi_u32 s11, s14, s16
	s_add_u32 s17, s19, s17
	s_addc_u32 s11, 0, s11
	s_mul_hi_u32 s20, s15, s18
	s_mul_i32 s18, s15, s18
	s_add_u32 s17, s17, s18
	s_mul_hi_u32 s19, s15, s16
	s_addc_u32 s11, s11, s20
	s_addc_u32 s17, s19, 0
	s_mul_i32 s16, s15, s16
	s_add_u32 s11, s11, s16
	s_addc_u32 s16, 0, s17
	s_add_u32 s17, s11, 1
	s_addc_u32 s18, s16, 0
	s_add_u32 s19, s11, 2
	s_mul_i32 s21, s0, s16
	s_mul_hi_u32 s22, s0, s11
	s_addc_u32 s20, s16, 0
	s_add_i32 s22, s22, s21
	s_mul_i32 s21, s0, s11
	v_mov_b32_e32 v2, s21
	v_sub_co_u32_e32 v2, vcc, s14, v2
	s_cmp_lg_u64 vcc, 0
	s_subb_u32 s14, s15, s22
	v_subrev_co_u32_e32 v3, vcc, s0, v2
	s_cmp_lg_u64 vcc, 0
	s_subb_u32 s15, s14, 0
	v_readfirstlane_b32 s21, v3
	s_cmp_ge_u32 s21, s0
	s_cselect_b32 s21, -1, 0
	s_cmp_eq_u32 s15, 0
	s_cselect_b32 s15, s21, -1
	s_cmp_lg_u32 s15, 0
	s_cselect_b32 s15, s20, s18
	v_readfirstlane_b32 s18, v2
	s_cselect_b32 s17, s19, s17
	s_cmp_ge_u32 s18, s0
	s_cselect_b32 s18, -1, 0
	s_cmp_eq_u32 s14, 0
	s_cselect_b32 s14, s18, -1
	s_cmp_lg_u32 s14, 0
	s_cselect_b32 s15, s15, s16
	s_cselect_b32 s14, s17, s11
	s_xor_b64 s[14:15], s[14:15], s[12:13]
	s_sub_u32 s20, s14, s12
	s_cbranch_execnz .LBB4_3
.LBB4_2:
	v_cvt_f32_u32_e32 v2, s0
	s_sub_i32 s8, 0, s0
	v_rcp_iflag_f32_e32 v2, v2
	v_mul_f32_e32 v2, 0x4f7ffffe, v2
	v_cvt_u32_f32_e32 v2, v2
	v_readfirstlane_b32 s9, v2
	s_mul_i32 s8, s8, s9
	s_mul_hi_u32 s8, s9, s8
	s_add_i32 s9, s9, s8
	s_mul_hi_u32 s8, s10, s9
	s_mul_i32 s11, s8, s0
	s_sub_i32 s10, s10, s11
	s_add_i32 s9, s8, 1
	s_sub_i32 s11, s10, s0
	s_cmp_ge_u32 s10, s0
	s_cselect_b32 s8, s9, s8
	s_cselect_b32 s10, s11, s10
	s_add_i32 s9, s8, 1
	s_cmp_ge_u32 s10, s0
	s_cselect_b32 s20, s9, s8
.LBB4_3:
	s_load_dwordx8 s[8:15], s[4:5], 0x18
	s_load_dwordx4 s[16:19], s[4:5], 0x38
	v_mov_b32_e32 v3, 0
	v_cmp_gt_u32_e32 vcc, s30, v0
	v_mov_b32_e32 v2, v3
	s_and_saveexec_b64 s[22:23], vcc
	s_cbranch_execz .LBB4_7
; %bb.4:
	v_mov_b32_e32 v2, 0
	s_mul_i32 s0, s30, s7
	s_mov_b64 s[24:25], 0
	v_mov_b32_e32 v5, 0
	s_waitcnt lgkmcnt(0)
	v_mov_b32_e32 v6, s15
	v_mov_b32_e32 v7, s17
	;; [unrolled: 1-line block ×4, first 2 shown]
.LBB4_5:                                ; =>This Inner Loop Header: Depth=1
	v_add_u32_e32 v4, s0, v8
	v_lshlrev_b64 v[10:11], 2, v[4:5]
	v_add_co_u32_e32 v12, vcc, s14, v10
	v_addc_co_u32_e32 v13, vcc, v6, v11, vcc
	v_add_co_u32_e32 v10, vcc, s16, v10
	v_addc_co_u32_e32 v11, vcc, v7, v11, vcc
	global_load_dword v14, v[12:13], off
	global_load_dword v15, v[10:11], off
	v_add_u32_e32 v8, 0x400, v8
	v_cmp_le_u32_e32 vcc, s30, v8
	s_or_b64 s[24:25], vcc, s[24:25]
	s_waitcnt vmcnt(0)
	v_pk_add_f32 v[2:3], v[2:3], v[14:15]
	s_andn2_b64 exec, exec, s[24:25]
	s_cbranch_execnz .LBB4_5
; %bb.6:
	s_or_b64 exec, exec, s[24:25]
.LBB4_7:
	s_or_b64 exec, exec, s[22:23]
	v_mbcnt_lo_u32_b32 v4, -1, 0
	v_mbcnt_hi_u32_b32 v14, -1, v4
	v_and_b32_e32 v15, 63, v14
	v_cmp_gt_u32_e32 vcc, 32, v15
	v_cndmask_b32_e64 v4, 0, 1, vcc
	v_lshlrev_b32_e32 v4, 5, v4
	v_add_lshl_u32 v6, v4, v14, 2
	ds_bpermute_b32 v4, v6, v2
	ds_bpermute_b32 v5, v6, v3
	v_cmp_gt_u32_e32 vcc, 48, v15
	v_cndmask_b32_e64 v7, 0, 1, vcc
	v_lshlrev_b32_e32 v7, 4, v7
	v_add_lshl_u32 v7, v7, v14, 2
	s_waitcnt lgkmcnt(0)
	v_pk_add_f32 v[2:3], v[2:3], v[4:5]
	ds_bpermute_b32 v10, v7, v2
	ds_bpermute_b32 v11, v7, v3
	v_cmp_gt_u32_e32 vcc, 56, v15
	v_cndmask_b32_e64 v4, 0, 1, vcc
	v_lshlrev_b32_e32 v4, 3, v4
	v_add_lshl_u32 v8, v4, v14, 2
	s_waitcnt lgkmcnt(0)
	v_pk_add_f32 v[2:3], v[2:3], v[10:11]
	;; [unrolled: 8-line block ×4, first 2 shown]
	ds_bpermute_b32 v12, v10, v2
	ds_bpermute_b32 v13, v10, v3
	v_cmp_ne_u32_e32 vcc, 63, v15
	v_addc_co_u32_e32 v4, vcc, 0, v14, vcc
	v_lshlrev_b32_e32 v11, 2, v4
	s_waitcnt lgkmcnt(0)
	v_pk_add_f32 v[2:3], v[2:3], v[12:13]
	ds_bpermute_b32 v4, v11, v2
	ds_bpermute_b32 v5, v11, v3
	v_and_b32_e32 v12, 63, v0
	s_mov_b32 s21, s1
	v_cmp_eq_u32_e32 vcc, 0, v12
	s_and_saveexec_b64 s[0:1], vcc
	s_cbranch_execz .LBB4_9
; %bb.8:
	v_lshrrev_b32_e32 v13, 3, v0
	s_waitcnt lgkmcnt(0)
	v_pk_add_f32 v[2:3], v[2:3], v[4:5]
	ds_write2_b32 v13, v2, v3 offset1:1
.LBB4_9:
	s_or_b64 exec, exec, s[0:1]
	v_cmp_gt_u32_e32 vcc, 16, v0
	s_waitcnt lgkmcnt(1)
	v_lshlrev_b32_e32 v4, 3, v12
	v_mov_b32_e32 v3, 0
	v_mov_b32_e32 v2, 0
	s_waitcnt lgkmcnt(0)
	s_barrier
	s_and_saveexec_b64 s[0:1], vcc
	s_cbranch_execnz .LBB4_31
; %bb.10:
	s_or_b64 exec, exec, s[0:1]
	s_and_saveexec_b64 s[0:1], vcc
	s_cbranch_execnz .LBB4_32
.LBB4_11:
	s_or_b64 exec, exec, s[0:1]
	v_cmp_gt_u32_e32 vcc, 64, v0
	s_and_saveexec_b64 s[0:1], vcc
	s_cbranch_execnz .LBB4_33
.LBB4_12:
	s_or_b64 exec, exec, s[0:1]
	v_cmp_eq_u32_e32 vcc, 0, v0
	s_and_saveexec_b64 s[0:1], vcc
	s_cbranch_execz .LBB4_14
.LBB4_13:
	v_mov_b32_e32 v4, 0
	s_waitcnt lgkmcnt(0)
	ds_write_b64 v4, v[2:3]
.LBB4_14:
	s_or_b64 exec, exec, s[0:1]
	s_waitcnt lgkmcnt(0)
	v_mov_b32_e32 v2, 0
	s_barrier
	ds_read_b64 v[2:3], v2
	v_cvt_f32_u32_e32 v4, s20
	s_load_dwordx2 s[0:1], s[4:5], 0x10
	s_waitcnt vmcnt(0)
	v_and_b32_e32 v1, 0xffff, v1
	v_mul_lo_u32 v1, s6, v1
	s_waitcnt lgkmcnt(0)
	v_div_scale_f32 v5, s[4:5], v4, v4, v2
	v_rcp_f32_e32 v6, v5
	s_bitcmp1_b32 s1, 0
	v_add_u32_e32 v1, v1, v0
	v_mov_b32_e32 v0, 0x180
	v_fma_f32 v7, -v5, v6, 1.0
	v_fmac_f32_e32 v6, v7, v6
	v_div_scale_f32 v7, vcc, v2, v4, v2
	v_mul_f32_e32 v8, v7, v6
	v_fma_f32 v9, -v5, v8, v7
	v_fmac_f32_e32 v8, v9, v6
	v_fma_f32 v5, -v5, v8, v7
	v_div_scale_f32 v7, s[14:15], v4, v4, v3
	v_rcp_f32_e32 v9, v7
	v_div_fmas_f32 v5, v5, v6, v8
	v_div_fixup_f32 v2, v5, v4, v2
	s_cselect_b64 s[4:5], -1, 0
	v_fma_f32 v5, -v7, v9, 1.0
	v_fmac_f32_e32 v9, v5, v9
	v_div_scale_f32 v5, vcc, v3, v4, v3
	v_mul_f32_e32 v6, v5, v9
	v_fma_f32 v8, -v7, v6, v5
	v_fmac_f32_e32 v6, v8, v9
	v_fma_f32 v5, -v7, v6, v5
	v_div_fmas_f32 v5, v5, v9, v6
	v_div_fixup_f32 v3, v5, v4, v3
	v_fma_f32 v3, -v2, v2, v3
	v_add_f32_e32 v3, s0, v3
	v_cvt_f64_f32_e32 v[4:5], v3
	v_rsq_f64_e32 v[6:7], v[4:5]
	s_mov_b32 s0, 0
	s_mov_b32 s1, 0x3fd80000
	v_mul_f64 v[4:5], v[6:7], -v[4:5]
	v_fma_f64 v[4:5], v[4:5], v[6:7], 1.0
	v_mul_f64 v[8:9], v[6:7], v[4:5]
	v_fma_f64 v[4:5], v[4:5], s[0:1], 0.5
	v_fma_f64 v[4:5], v[8:9], v[4:5], v[6:7]
	v_cmp_class_f64_e32 vcc, v[6:7], v0
	v_cndmask_b32_e32 v5, v7, v5, vcc
	v_cndmask_b32_e32 v4, v6, v4, vcc
	v_cvt_f32_f64_e32 v0, v[4:5]
	s_mov_b64 s[0:1], -1
	s_and_b64 vcc, exec, s[4:5]
	s_cbranch_vccnz .LBB4_35
; %bb.15:
	v_cmp_gt_u32_e32 vcc, s20, v1
	s_and_saveexec_b64 s[4:5], vcc
	s_cbranch_execz .LBB4_34
; %bb.16:
	v_cvt_f32_u32_e32 v3, s2
	v_cvt_f32_u32_e32 v4, s21
	s_cmp_lg_u64 s[10:11], 0
	s_cselect_b64 s[16:17], -1, 0
	v_rcp_iflag_f32_e32 v3, v3
	s_cmp_lg_u64 s[12:13], 0
	s_cselect_b64 s[22:23], -1, 0
	s_sub_i32 s0, 0, s2
	v_mul_f32_e32 v3, 0x4f7ffffe, v3
	v_cvt_u32_f32_e32 v6, v3
	v_cvt_f32_ubyte0_e32 v3, 0
	v_mac_f32_e32 v4, 0x4f800000, v3
	v_rcp_f32_e32 v3, v4
	v_mul_lo_u32 v4, s0, v6
	v_mul_hi_u32 v4, v6, v4
	s_mul_i32 s6, s7, s20
	v_mul_f32_e32 v3, 0x5f7ffffc, v3
	v_mul_f32_e32 v7, 0x2f800000, v3
	v_trunc_f32_e32 v7, v7
	v_mac_f32_e32 v3, 0xcf800000, v7
	v_cvt_u32_f32_e32 v3, v3
	v_cvt_u32_f32_e32 v10, v7
	s_mov_b64 s[14:15], 0
	s_lshl_b32 s31, s30, 10
	v_mov_b32_e32 v5, 0
	s_mov_b32 s24, 0
	s_mov_b32 s25, s3
	s_ashr_i32 s26, s3, 31
	v_add_u32_e32 v11, v6, v4
	v_mov_b32_e32 v12, v1
	s_branch .LBB4_19
.LBB4_17:                               ;   in Loop: Header=BB4_19 Depth=1
	v_mov_b32_e32 v9, v5
	v_lshlrev_b64 v[8:9], 1, v[8:9]
	v_mov_b32_e32 v7, s13
	v_add_co_u32_e32 v8, vcc, s12, v8
	v_addc_co_u32_e32 v9, vcc, v7, v9, vcc
	global_load_ushort v7, v[8:9], off
	s_waitcnt vmcnt(0)
	v_cvt_f32_f16_e32 v7, v7
.LBB4_18:                               ;   in Loop: Header=BB4_19 Depth=1
	v_lshlrev_b64 v[8:9], 1, v[4:5]
	v_mov_b32_e32 v4, s9
	v_add_co_u32_e32 v14, vcc, s8, v8
	v_addc_co_u32_e32 v15, vcc, v4, v9, vcc
	global_load_ushort v4, v[14:15], off
	v_mov_b32_e32 v13, s19
	v_add_co_u32_e32 v8, vcc, s18, v8
	v_add_u32_e32 v12, s31, v12
	v_addc_co_u32_e32 v9, vcc, v13, v9, vcc
	v_cmp_le_u32_e32 vcc, s20, v12
	s_or_b64 s[14:15], vcc, s[14:15]
	s_waitcnt vmcnt(0)
	v_cvt_f32_f16_e32 v4, v4
	v_sub_f32_e32 v4, v4, v2
	v_mul_f32_e32 v4, v4, v0
	v_fma_mixlo_f16 v4, v6, v4, v7
	global_store_short v[8:9], v4, off
	s_andn2_b64 exec, exec, s[14:15]
	s_cbranch_execz .LBB4_34
.LBB4_19:                               ; =>This Inner Loop Header: Depth=1
	s_cmp_lg_u64 s[24:25], 0
	v_add_u32_e32 v4, s6, v12
	s_cbranch_scc0 .LBB4_30
; %bb.20:                               ;   in Loop: Header=BB4_19 Depth=1
	s_add_u32 s0, s2, s26
	s_mov_b32 s27, s26
	s_addc_u32 s1, s3, s26
	s_xor_b64 s[28:29], s[0:1], s[26:27]
	v_cvt_f32_u32_e32 v6, s28
	v_cvt_f32_u32_e32 v7, s29
	s_sub_u32 s0, 0, s28
	s_subb_u32 s1, 0, s29
	v_mac_f32_e32 v6, 0x4f800000, v7
	v_rcp_f32_e32 v6, v6
	v_mul_f32_e32 v6, 0x5f7ffffc, v6
	v_mul_f32_e32 v7, 0x2f800000, v6
	v_trunc_f32_e32 v7, v7
	v_mac_f32_e32 v6, 0xcf800000, v7
	v_cvt_u32_f32_e32 v7, v7
	v_cvt_u32_f32_e32 v6, v6
	v_mul_lo_u32 v8, s0, v7
	v_mul_hi_u32 v13, s0, v6
	v_mul_lo_u32 v9, s1, v6
	v_add_u32_e32 v8, v13, v8
	v_mul_lo_u32 v14, s0, v6
	v_add_u32_e32 v8, v8, v9
	v_mul_lo_u32 v13, v6, v8
	v_mul_hi_u32 v15, v6, v14
	v_mul_hi_u32 v9, v6, v8
	v_add_co_u32_e32 v13, vcc, v15, v13
	v_addc_co_u32_e32 v9, vcc, 0, v9, vcc
	v_mul_hi_u32 v16, v7, v14
	v_mul_lo_u32 v14, v7, v14
	v_add_co_u32_e32 v13, vcc, v13, v14
	v_mul_hi_u32 v15, v7, v8
	v_addc_co_u32_e32 v9, vcc, v9, v16, vcc
	v_addc_co_u32_e32 v13, vcc, 0, v15, vcc
	v_mul_lo_u32 v8, v7, v8
	v_add_co_u32_e32 v8, vcc, v9, v8
	v_addc_co_u32_e32 v9, vcc, 0, v13, vcc
	v_add_co_u32_e32 v6, vcc, v6, v8
	v_addc_co_u32_e32 v7, vcc, v7, v9, vcc
	v_mul_lo_u32 v8, s0, v7
	v_mul_hi_u32 v9, s0, v6
	v_add_u32_e32 v8, v9, v8
	v_mul_lo_u32 v9, s1, v6
	v_add_u32_e32 v8, v8, v9
	v_mul_lo_u32 v13, s0, v6
	v_mul_hi_u32 v14, v7, v13
	v_mul_lo_u32 v15, v7, v13
	v_mul_lo_u32 v17, v6, v8
	v_mul_hi_u32 v13, v6, v13
	v_mul_hi_u32 v16, v6, v8
	v_add_co_u32_e32 v13, vcc, v13, v17
	v_addc_co_u32_e32 v16, vcc, 0, v16, vcc
	v_add_co_u32_e32 v13, vcc, v13, v15
	v_mul_hi_u32 v9, v7, v8
	v_addc_co_u32_e32 v13, vcc, v16, v14, vcc
	v_addc_co_u32_e32 v9, vcc, 0, v9, vcc
	v_mul_lo_u32 v8, v7, v8
	v_add_co_u32_e32 v8, vcc, v13, v8
	v_addc_co_u32_e32 v9, vcc, 0, v9, vcc
	v_add_co_u32_e32 v8, vcc, v6, v8
	v_addc_co_u32_e32 v9, vcc, v7, v9, vcc
	v_mad_u64_u32 v[6:7], s[0:1], v4, v9, 0
	v_mul_hi_u32 v13, v4, v8
	v_add_co_u32_e32 v13, vcc, v13, v6
	v_addc_co_u32_e32 v14, vcc, 0, v7, vcc
	v_mad_u64_u32 v[6:7], s[0:1], 0, v9, 0
	v_mad_u64_u32 v[8:9], s[0:1], 0, v8, 0
	v_add_co_u32_e32 v8, vcc, v13, v8
	v_addc_co_u32_e32 v8, vcc, v14, v9, vcc
	v_addc_co_u32_e32 v7, vcc, 0, v7, vcc
	v_add_co_u32_e32 v8, vcc, v8, v6
	v_addc_co_u32_e32 v9, vcc, 0, v7, vcc
	v_mul_lo_u32 v13, s29, v8
	v_mul_lo_u32 v14, s28, v9
	v_mad_u64_u32 v[6:7], s[0:1], s28, v8, 0
	v_add3_u32 v7, v7, v14, v13
	v_sub_u32_e32 v13, 0, v7
	v_mov_b32_e32 v14, s29
	v_sub_co_u32_e32 v6, vcc, v4, v6
	v_subb_co_u32_e64 v13, s[0:1], v13, v14, vcc
	v_subrev_co_u32_e64 v14, s[0:1], s28, v6
	v_subbrev_co_u32_e64 v13, s[0:1], 0, v13, s[0:1]
	v_cmp_le_u32_e64 s[0:1], s29, v13
	v_cndmask_b32_e64 v15, 0, -1, s[0:1]
	v_cmp_le_u32_e64 s[0:1], s28, v14
	v_cndmask_b32_e64 v14, 0, -1, s[0:1]
	v_cmp_eq_u32_e64 s[0:1], s29, v13
	v_cndmask_b32_e64 v13, v15, v14, s[0:1]
	v_add_co_u32_e64 v14, s[0:1], 2, v8
	v_addc_co_u32_e64 v15, s[0:1], 0, v9, s[0:1]
	v_add_co_u32_e64 v16, s[0:1], 1, v8
	v_addc_co_u32_e64 v17, s[0:1], 0, v9, s[0:1]
	v_subb_co_u32_e32 v7, vcc, 0, v7, vcc
	v_cmp_ne_u32_e64 s[0:1], 0, v13
	v_cmp_le_u32_e32 vcc, s29, v7
	v_cndmask_b32_e64 v13, v17, v15, s[0:1]
	v_cndmask_b32_e64 v15, 0, -1, vcc
	v_cmp_le_u32_e32 vcc, s28, v6
	v_cndmask_b32_e64 v6, 0, -1, vcc
	v_cmp_eq_u32_e32 vcc, s29, v7
	v_cndmask_b32_e32 v6, v15, v6, vcc
	v_cmp_ne_u32_e32 vcc, 0, v6
	v_cndmask_b32_e64 v7, v16, v14, s[0:1]
	v_cndmask_b32_e32 v6, v9, v13, vcc
	v_cndmask_b32_e32 v7, v8, v7, vcc
	v_xor_b32_e32 v8, s26, v6
	v_xor_b32_e32 v6, s26, v7
	v_mov_b32_e32 v7, s26
	v_subrev_co_u32_e32 v6, vcc, s26, v6
	v_subb_co_u32_e32 v7, vcc, v8, v7, vcc
	s_cbranch_execnz .LBB4_22
.LBB4_21:                               ;   in Loop: Header=BB4_19 Depth=1
	v_mul_hi_u32 v6, v4, v11
	v_mul_lo_u32 v7, v6, s2
	v_sub_u32_e32 v7, v4, v7
	v_subrev_u32_e32 v8, s2, v7
	v_cmp_le_u32_e32 vcc, s2, v7
	v_cndmask_b32_e32 v7, v7, v8, vcc
	v_add_u32_e32 v8, 1, v6
	v_cndmask_b32_e32 v6, v6, v8, vcc
	v_add_u32_e32 v8, 1, v6
	v_cmp_le_u32_e32 vcc, s2, v7
	v_cndmask_b32_e32 v6, v6, v8, vcc
	v_mov_b32_e32 v7, v5
.LBB4_22:                               ;   in Loop: Header=BB4_19 Depth=1
	v_mov_b32_e32 v8, v5
	v_mov_b32_e32 v9, v7
	v_cmp_ne_u64_e32 vcc, 0, v[8:9]
                                        ; implicit-def: $vgpr8_vgpr9
	s_and_saveexec_b64 s[0:1], vcc
	s_xor_b64 s[0:1], exec, s[0:1]
	s_cbranch_execnz .LBB4_26
; %bb.23:                               ;   in Loop: Header=BB4_19 Depth=1
	s_andn2_saveexec_b64 s[0:1], s[0:1]
	s_cbranch_execnz .LBB4_27
.LBB4_24:                               ;   in Loop: Header=BB4_19 Depth=1
	s_or_b64 exec, exec, s[0:1]
	s_andn2_b64 vcc, exec, s[16:17]
	s_cbranch_vccnz .LBB4_28
.LBB4_25:                               ;   in Loop: Header=BB4_19 Depth=1
	v_mov_b32_e32 v9, v5
	v_lshlrev_b64 v[6:7], 1, v[8:9]
	v_mov_b32_e32 v9, s11
	v_add_co_u32_e32 v6, vcc, s10, v6
	v_addc_co_u32_e32 v7, vcc, v9, v7, vcc
	global_load_ushort v6, v[6:7], off
	s_waitcnt vmcnt(0)
	v_cvt_f32_f16_e32 v6, v6
	s_andn2_b64 vcc, exec, s[22:23]
	s_cbranch_vccz .LBB4_17
	s_branch .LBB4_29
.LBB4_26:                               ;   in Loop: Header=BB4_19 Depth=1
	s_sub_u32 s27, 0, s21
	s_subb_u32 s28, 0, 0
	v_mul_hi_u32 v9, s27, v3
	v_mul_lo_u32 v13, s27, v10
	v_mul_lo_u32 v8, s28, v3
	v_add_u32_e32 v9, v9, v13
	v_add_u32_e32 v8, v9, v8
	v_mul_lo_u32 v14, s27, v3
	v_mul_lo_u32 v13, v3, v8
	v_mul_hi_u32 v15, v3, v14
	v_mul_hi_u32 v9, v3, v8
	v_add_co_u32_e32 v13, vcc, v15, v13
	v_addc_co_u32_e32 v9, vcc, 0, v9, vcc
	v_mul_hi_u32 v16, v10, v14
	v_mul_lo_u32 v14, v10, v14
	v_add_co_u32_e32 v13, vcc, v13, v14
	v_mul_hi_u32 v15, v10, v8
	v_addc_co_u32_e32 v9, vcc, v9, v16, vcc
	v_addc_co_u32_e32 v13, vcc, 0, v15, vcc
	v_mul_lo_u32 v8, v10, v8
	v_add_co_u32_e32 v8, vcc, v9, v8
	v_addc_co_u32_e32 v9, vcc, 0, v13, vcc
	v_add_co_u32_e32 v8, vcc, v3, v8
	v_addc_co_u32_e32 v9, vcc, v10, v9, vcc
	v_mul_lo_u32 v13, s27, v9
	v_mul_hi_u32 v14, s27, v8
	v_add_u32_e32 v13, v14, v13
	v_mul_lo_u32 v14, s28, v8
	v_add_u32_e32 v13, v13, v14
	v_mul_lo_u32 v15, s27, v8
	v_mul_hi_u32 v16, v9, v15
	v_mul_lo_u32 v17, v9, v15
	v_mul_lo_u32 v19, v8, v13
	v_mul_hi_u32 v15, v8, v15
	v_mul_hi_u32 v18, v8, v13
	v_add_co_u32_e32 v15, vcc, v15, v19
	v_addc_co_u32_e32 v18, vcc, 0, v18, vcc
	v_add_co_u32_e32 v15, vcc, v15, v17
	v_mul_hi_u32 v14, v9, v13
	v_addc_co_u32_e32 v15, vcc, v18, v16, vcc
	v_addc_co_u32_e32 v14, vcc, 0, v14, vcc
	v_mul_lo_u32 v13, v9, v13
	v_add_co_u32_e32 v13, vcc, v15, v13
	v_addc_co_u32_e32 v14, vcc, 0, v14, vcc
	v_add_co_u32_e32 v8, vcc, v8, v13
	v_addc_co_u32_e32 v9, vcc, v9, v14, vcc
	v_ashrrev_i32_e32 v13, 31, v7
	v_add_co_u32_e32 v6, vcc, v6, v13
	v_addc_co_u32_e32 v7, vcc, v7, v13, vcc
	v_xor_b32_e32 v15, v6, v13
	v_xor_b32_e32 v14, v7, v13
	v_mad_u64_u32 v[6:7], s[28:29], v15, v9, 0
	v_mul_hi_u32 v16, v15, v8
	v_add_co_u32_e32 v16, vcc, v16, v6
	v_addc_co_u32_e32 v17, vcc, 0, v7, vcc
	v_mad_u64_u32 v[6:7], s[28:29], v14, v9, 0
	v_mad_u64_u32 v[8:9], s[28:29], v14, v8, 0
	v_add_co_u32_e32 v8, vcc, v16, v8
	v_addc_co_u32_e32 v8, vcc, v17, v9, vcc
	v_addc_co_u32_e32 v7, vcc, 0, v7, vcc
	v_add_co_u32_e32 v6, vcc, v8, v6
	v_addc_co_u32_e32 v9, vcc, 0, v7, vcc
	v_mad_u64_u32 v[6:7], s[28:29], s21, v6, 0
	v_mov_b32_e32 v8, v7
	v_mad_u64_u32 v[8:9], s[28:29], s21, v9, v[8:9]
	v_sub_co_u32_e32 v6, vcc, v15, v6
	v_subb_co_u32_e32 v7, vcc, v14, v8, vcc
	v_subrev_co_u32_e32 v8, vcc, s21, v6
	v_subbrev_co_u32_e32 v9, vcc, 0, v7, vcc
	v_subrev_co_u32_e32 v14, vcc, s21, v8
	v_cmp_le_u32_e32 vcc, s21, v8
	v_cndmask_b32_e64 v15, 0, -1, vcc
	v_cmp_eq_u32_e32 vcc, 0, v9
	v_cndmask_b32_e32 v9, -1, v15, vcc
	v_cmp_le_u32_e32 vcc, s21, v6
	v_cndmask_b32_e64 v15, 0, -1, vcc
	v_cmp_eq_u32_e32 vcc, 0, v7
	v_cndmask_b32_e32 v7, -1, v15, vcc
	v_cmp_ne_u32_e32 vcc, 0, v9
	v_cndmask_b32_e32 v8, v8, v14, vcc
	v_cmp_ne_u32_e32 vcc, 0, v7
	v_cndmask_b32_e32 v6, v6, v8, vcc
	v_xor_b32_e32 v6, v6, v13
	v_sub_co_u32_e32 v8, vcc, v6, v13
                                        ; implicit-def: $vgpr6_vgpr7
	s_andn2_saveexec_b64 s[0:1], s[0:1]
	s_cbranch_execz .LBB4_24
.LBB4_27:                               ;   in Loop: Header=BB4_19 Depth=1
	v_cvt_f32_u32_e32 v7, s21
	s_sub_i32 s27, 0, s21
	v_rcp_iflag_f32_e32 v7, v7
	v_mul_f32_e32 v7, 0x4f7ffffe, v7
	v_cvt_u32_f32_e32 v7, v7
	v_mul_lo_u32 v8, s27, v7
	v_mul_hi_u32 v8, v7, v8
	v_add_u32_e32 v7, v7, v8
	v_mul_hi_u32 v7, v6, v7
	v_mul_lo_u32 v7, v7, s21
	v_sub_u32_e32 v6, v6, v7
	v_subrev_u32_e32 v7, s21, v6
	v_cmp_le_u32_e32 vcc, s21, v6
	v_cndmask_b32_e32 v6, v6, v7, vcc
	v_subrev_u32_e32 v7, s21, v6
	v_cmp_le_u32_e32 vcc, s21, v6
	v_cndmask_b32_e32 v8, v6, v7, vcc
	s_or_b64 exec, exec, s[0:1]
	s_andn2_b64 vcc, exec, s[16:17]
	s_cbranch_vccz .LBB4_25
.LBB4_28:                               ;   in Loop: Header=BB4_19 Depth=1
	v_mov_b32_e32 v6, 1.0
	s_andn2_b64 vcc, exec, s[22:23]
	s_cbranch_vccz .LBB4_17
.LBB4_29:                               ;   in Loop: Header=BB4_19 Depth=1
	v_mov_b32_e32 v7, 0
	s_branch .LBB4_18
.LBB4_30:                               ;   in Loop: Header=BB4_19 Depth=1
                                        ; implicit-def: $vgpr6_vgpr7
	s_branch .LBB4_21
.LBB4_31:
	ds_read_b32 v2, v4
	s_or_b64 exec, exec, s[0:1]
	s_and_saveexec_b64 s[0:1], vcc
	s_cbranch_execz .LBB4_11
.LBB4_32:
	ds_read_b32 v3, v4 offset:4
	s_or_b64 exec, exec, s[0:1]
	v_cmp_gt_u32_e32 vcc, 64, v0
	s_and_saveexec_b64 s[0:1], vcc
	s_cbranch_execz .LBB4_12
.LBB4_33:
	s_waitcnt lgkmcnt(0)
	ds_bpermute_b32 v4, v6, v2
	ds_bpermute_b32 v5, v6, v3
	s_waitcnt lgkmcnt(0)
	v_pk_add_f32 v[2:3], v[2:3], v[4:5]
	ds_bpermute_b32 v6, v7, v2
	ds_bpermute_b32 v7, v7, v3
	s_waitcnt lgkmcnt(0)
	v_pk_add_f32 v[2:3], v[2:3], v[6:7]
	;; [unrolled: 4-line block ×6, first 2 shown]
	s_or_b64 exec, exec, s[0:1]
	v_cmp_eq_u32_e32 vcc, 0, v0
	s_and_saveexec_b64 s[0:1], vcc
	s_cbranch_execnz .LBB4_13
	s_branch .LBB4_14
.LBB4_34:
	s_or_b64 exec, exec, s[4:5]
	s_mov_b64 s[0:1], 0
.LBB4_35:
	s_andn2_b64 vcc, exec, s[0:1]
	s_cbranch_vccnz .LBB4_51
; %bb.36:
	v_lshlrev_b32_e32 v7, 2, v1
	v_cmp_gt_u32_e32 vcc, s20, v7
	s_and_saveexec_b64 s[0:1], vcc
	s_cbranch_execz .LBB4_51
; %bb.37:
	v_cvt_f32_u32_e32 v4, s2
	s_cmp_lg_u64 s[10:11], 0
	s_mul_i32 s26, s7, s20
	s_cselect_b64 s[6:7], -1, 0
	v_rcp_iflag_f32_e32 v4, v4
	s_cmp_lg_u64 s[12:13], 0
	s_cselect_b64 s[14:15], -1, 0
	s_sub_i32 s0, 0, s2
	v_mul_f32_e32 v4, 0x4f7ffffe, v4
	v_cvt_u32_f32_e32 v4, v4
	v_mov_b32_e32 v5, 0
	s_mov_b64 s[4:5], 0
	s_lshl_b32 s27, s30, 12
	v_mul_lo_u32 v8, s0, v4
	v_mul_hi_u32 v8, v4, v8
	v_mov_b32_e32 v3, v2
	v_mov_b32_e32 v1, v0
	v_mov_b32_e32 v6, 1.0
	s_mov_b32 s16, 0
	s_mov_b32 s17, s3
	s_ashr_i32 s22, s3, 31
	v_add_u32_e32 v9, v4, v8
	v_cvt_f32_ubyte0_e32 v16, 0
	v_mov_b32_e32 v8, v5
	s_branch .LBB4_39
.LBB4_38:                               ;   in Loop: Header=BB4_39 Depth=1
	s_waitcnt vmcnt(0)
	v_cvt_f32_f16_sdwa v13, v14 dst_sel:DWORD dst_unused:UNUSED_PAD src0_sel:WORD_1
	v_cvt_f32_f16_sdwa v12, v15 dst_sel:DWORD dst_unused:UNUSED_PAD src0_sel:WORD_1
	v_cvt_f32_f16_e32 v4, v14
	v_cvt_f32_f16_e32 v14, v15
	v_mov_b32_e32 v15, s19
	v_pk_add_f32 v[12:13], v[12:13], v[2:3] neg_lo:[0,1] neg_hi:[0,1]
	v_pk_mul_f32 v[12:13], v[12:13], v[0:1]
	v_pk_fma_f32 v[12:13], v[12:13], v[6:7], v[8:9] op_sel_hi:[1,0,0]
	v_sub_f32_e32 v4, v4, v2
	v_cvt_f16_f32_sdwa v12, v12 dst_sel:WORD_1 dst_unused:UNUSED_PAD src0_sel:DWORD
	v_cvt_f16_f32_sdwa v17, v13 dst_sel:WORD_1 dst_unused:UNUSED_PAD src0_sel:DWORD
	v_mul_f32_e32 v4, v4, v0
	v_sub_f32_e32 v14, v14, v2
	v_add_co_u32_e32 v10, vcc, s18, v10
	v_mul_f32_e32 v14, v14, v0
	v_fma_mixlo_f16 v4, v4, v6, v8
	v_addc_co_u32_e32 v11, vcc, v15, v11, vcc
	v_add_u32_e32 v7, s27, v7
	v_fma_mixlo_f16 v14, v14, v6, v8
	v_and_b32_e32 v4, 0xffff, v4
	v_cmp_le_u32_e32 vcc, s20, v7
	v_or_b32_sdwa v13, v12, v14 dst_sel:DWORD dst_unused:UNUSED_PAD src0_sel:DWORD src1_sel:WORD_0
	v_or_b32_e32 v12, v17, v4
	s_or_b64 s[4:5], vcc, s[4:5]
	global_store_dwordx2 v[10:11], v[12:13], off
	s_andn2_b64 exec, exec, s[4:5]
	s_cbranch_execz .LBB4_51
.LBB4_39:                               ; =>This Inner Loop Header: Depth=1
	s_cmp_lg_u64 s[16:17], 0
	v_add_u32_e32 v4, s26, v7
	s_cbranch_scc0 .LBB4_50
; %bb.40:                               ;   in Loop: Header=BB4_39 Depth=1
	s_add_u32 s0, s2, s22
	s_mov_b32 s23, s22
	s_addc_u32 s1, s3, s22
	s_xor_b64 s[24:25], s[0:1], s[22:23]
	v_cvt_f32_u32_e32 v10, s24
	v_cvt_f32_u32_e32 v11, s25
	s_sub_u32 s0, 0, s24
	s_subb_u32 s1, 0, s25
	v_mac_f32_e32 v10, 0x4f800000, v11
	v_rcp_f32_e32 v10, v10
	v_mul_f32_e32 v10, 0x5f7ffffc, v10
	v_mul_f32_e32 v11, 0x2f800000, v10
	v_trunc_f32_e32 v11, v11
	v_mac_f32_e32 v10, 0xcf800000, v11
	v_cvt_u32_f32_e32 v11, v11
	v_cvt_u32_f32_e32 v10, v10
	v_mul_lo_u32 v12, s0, v11
	v_mul_hi_u32 v14, s0, v10
	v_mul_lo_u32 v13, s1, v10
	v_add_u32_e32 v12, v14, v12
	v_mul_lo_u32 v15, s0, v10
	v_add_u32_e32 v12, v12, v13
	v_mul_lo_u32 v14, v10, v12
	v_mul_hi_u32 v17, v10, v15
	v_mul_hi_u32 v13, v10, v12
	v_add_co_u32_e32 v14, vcc, v17, v14
	v_addc_co_u32_e32 v13, vcc, 0, v13, vcc
	v_mul_hi_u32 v18, v11, v15
	v_mul_lo_u32 v15, v11, v15
	v_add_co_u32_e32 v14, vcc, v14, v15
	v_mul_hi_u32 v17, v11, v12
	v_addc_co_u32_e32 v13, vcc, v13, v18, vcc
	v_addc_co_u32_e32 v14, vcc, 0, v17, vcc
	v_mul_lo_u32 v12, v11, v12
	v_add_co_u32_e32 v12, vcc, v13, v12
	v_addc_co_u32_e32 v13, vcc, 0, v14, vcc
	v_add_co_u32_e32 v10, vcc, v10, v12
	v_addc_co_u32_e32 v11, vcc, v11, v13, vcc
	v_mul_lo_u32 v12, s0, v11
	v_mul_hi_u32 v13, s0, v10
	v_add_u32_e32 v12, v13, v12
	v_mul_lo_u32 v13, s1, v10
	v_add_u32_e32 v12, v12, v13
	v_mul_lo_u32 v14, s0, v10
	v_mul_hi_u32 v15, v11, v14
	v_mul_lo_u32 v17, v11, v14
	v_mul_lo_u32 v19, v10, v12
	v_mul_hi_u32 v14, v10, v14
	v_mul_hi_u32 v18, v10, v12
	v_add_co_u32_e32 v14, vcc, v14, v19
	v_addc_co_u32_e32 v18, vcc, 0, v18, vcc
	v_add_co_u32_e32 v14, vcc, v14, v17
	v_mul_hi_u32 v13, v11, v12
	v_addc_co_u32_e32 v14, vcc, v18, v15, vcc
	v_addc_co_u32_e32 v13, vcc, 0, v13, vcc
	v_mul_lo_u32 v12, v11, v12
	v_add_co_u32_e32 v12, vcc, v14, v12
	v_addc_co_u32_e32 v13, vcc, 0, v13, vcc
	v_add_co_u32_e32 v12, vcc, v10, v12
	v_addc_co_u32_e32 v13, vcc, v11, v13, vcc
	v_mad_u64_u32 v[10:11], s[0:1], v4, v13, 0
	v_mul_hi_u32 v14, v4, v12
	v_add_co_u32_e32 v14, vcc, v14, v10
	v_addc_co_u32_e32 v15, vcc, 0, v11, vcc
	v_mad_u64_u32 v[10:11], s[0:1], 0, v13, 0
	v_mad_u64_u32 v[12:13], s[0:1], 0, v12, 0
	v_add_co_u32_e32 v12, vcc, v14, v12
	v_addc_co_u32_e32 v12, vcc, v15, v13, vcc
	v_addc_co_u32_e32 v11, vcc, 0, v11, vcc
	v_add_co_u32_e32 v12, vcc, v12, v10
	v_addc_co_u32_e32 v13, vcc, 0, v11, vcc
	v_mul_lo_u32 v14, s25, v12
	v_mul_lo_u32 v15, s24, v13
	v_mad_u64_u32 v[10:11], s[0:1], s24, v12, 0
	v_add3_u32 v11, v11, v15, v14
	v_sub_u32_e32 v14, 0, v11
	v_mov_b32_e32 v15, s25
	v_sub_co_u32_e32 v10, vcc, v4, v10
	v_subb_co_u32_e64 v14, s[0:1], v14, v15, vcc
	v_subrev_co_u32_e64 v15, s[0:1], s24, v10
	v_subbrev_co_u32_e64 v14, s[0:1], 0, v14, s[0:1]
	v_cmp_le_u32_e64 s[0:1], s25, v14
	v_cndmask_b32_e64 v17, 0, -1, s[0:1]
	v_cmp_le_u32_e64 s[0:1], s24, v15
	v_cndmask_b32_e64 v15, 0, -1, s[0:1]
	v_cmp_eq_u32_e64 s[0:1], s25, v14
	v_cndmask_b32_e64 v14, v17, v15, s[0:1]
	v_add_co_u32_e64 v15, s[0:1], 2, v12
	v_addc_co_u32_e64 v17, s[0:1], 0, v13, s[0:1]
	v_add_co_u32_e64 v18, s[0:1], 1, v12
	v_addc_co_u32_e64 v19, s[0:1], 0, v13, s[0:1]
	v_subb_co_u32_e32 v11, vcc, 0, v11, vcc
	v_cmp_ne_u32_e64 s[0:1], 0, v14
	v_cmp_le_u32_e32 vcc, s25, v11
	v_cndmask_b32_e64 v14, v19, v17, s[0:1]
	v_cndmask_b32_e64 v17, 0, -1, vcc
	v_cmp_le_u32_e32 vcc, s24, v10
	v_cndmask_b32_e64 v10, 0, -1, vcc
	v_cmp_eq_u32_e32 vcc, s25, v11
	v_cndmask_b32_e32 v10, v17, v10, vcc
	v_cmp_ne_u32_e32 vcc, 0, v10
	v_cndmask_b32_e64 v11, v18, v15, s[0:1]
	v_cndmask_b32_e32 v10, v13, v14, vcc
	v_cndmask_b32_e32 v11, v12, v11, vcc
	v_xor_b32_e32 v12, s22, v10
	v_xor_b32_e32 v10, s22, v11
	v_mov_b32_e32 v11, s22
	v_subrev_co_u32_e32 v10, vcc, s22, v10
	v_subb_co_u32_e32 v11, vcc, v12, v11, vcc
	s_cbranch_execnz .LBB4_42
.LBB4_41:                               ;   in Loop: Header=BB4_39 Depth=1
	v_mul_hi_u32 v10, v4, v9
	v_mul_lo_u32 v11, v10, s2
	v_sub_u32_e32 v11, v4, v11
	v_subrev_u32_e32 v12, s2, v11
	v_cmp_le_u32_e32 vcc, s2, v11
	v_cndmask_b32_e32 v11, v11, v12, vcc
	v_add_u32_e32 v12, 1, v10
	v_cndmask_b32_e32 v10, v10, v12, vcc
	v_add_u32_e32 v12, 1, v10
	v_cmp_le_u32_e32 vcc, s2, v11
	v_cndmask_b32_e32 v10, v10, v12, vcc
	v_mov_b32_e32 v11, v5
.LBB4_42:                               ;   in Loop: Header=BB4_39 Depth=1
	v_mov_b32_e32 v12, v5
	v_mov_b32_e32 v13, v11
	v_cmp_ne_u64_e32 vcc, 0, v[12:13]
                                        ; implicit-def: $vgpr12_vgpr13
	s_and_saveexec_b64 s[0:1], vcc
	s_xor_b64 s[0:1], exec, s[0:1]
	s_cbranch_execz .LBB4_44
; %bb.43:                               ;   in Loop: Header=BB4_39 Depth=1
	v_cvt_f32_u32_e32 v12, s21
	s_sub_u32 s23, 0, s21
	s_subb_u32 s24, 0, 0
	v_mac_f32_e32 v12, 0x4f800000, v16
	v_rcp_f32_e32 v12, v12
	v_mul_f32_e32 v12, 0x5f7ffffc, v12
	v_mul_f32_e32 v13, 0x2f800000, v12
	v_trunc_f32_e32 v13, v13
	v_mac_f32_e32 v12, 0xcf800000, v13
	v_cvt_u32_f32_e32 v13, v13
	v_cvt_u32_f32_e32 v12, v12
	v_mul_lo_u32 v14, s23, v13
	v_mul_hi_u32 v17, s23, v12
	v_mul_lo_u32 v15, s24, v12
	v_add_u32_e32 v14, v17, v14
	v_mul_lo_u32 v18, s23, v12
	v_add_u32_e32 v14, v14, v15
	v_mul_hi_u32 v17, v12, v18
	v_mul_lo_u32 v19, v12, v14
	v_mul_hi_u32 v15, v12, v14
	v_add_co_u32_e32 v17, vcc, v17, v19
	v_addc_co_u32_e32 v15, vcc, 0, v15, vcc
	v_mul_hi_u32 v20, v13, v18
	v_mul_lo_u32 v18, v13, v18
	v_add_co_u32_e32 v17, vcc, v17, v18
	v_mul_hi_u32 v19, v13, v14
	v_addc_co_u32_e32 v15, vcc, v15, v20, vcc
	v_addc_co_u32_e32 v17, vcc, 0, v19, vcc
	v_mul_lo_u32 v14, v13, v14
	v_add_co_u32_e32 v14, vcc, v15, v14
	v_addc_co_u32_e32 v15, vcc, 0, v17, vcc
	v_add_co_u32_e32 v12, vcc, v12, v14
	v_addc_co_u32_e32 v13, vcc, v13, v15, vcc
	v_mul_lo_u32 v14, s23, v13
	v_mul_hi_u32 v15, s23, v12
	v_add_u32_e32 v14, v15, v14
	v_mul_lo_u32 v15, s24, v12
	v_add_u32_e32 v14, v14, v15
	v_mul_lo_u32 v17, s23, v12
	v_mul_hi_u32 v18, v13, v17
	v_mul_lo_u32 v19, v13, v17
	v_mul_lo_u32 v21, v12, v14
	v_mul_hi_u32 v17, v12, v17
	v_mul_hi_u32 v20, v12, v14
	v_add_co_u32_e32 v17, vcc, v17, v21
	v_addc_co_u32_e32 v20, vcc, 0, v20, vcc
	v_add_co_u32_e32 v17, vcc, v17, v19
	v_mul_hi_u32 v15, v13, v14
	v_addc_co_u32_e32 v17, vcc, v20, v18, vcc
	v_addc_co_u32_e32 v15, vcc, 0, v15, vcc
	v_mul_lo_u32 v14, v13, v14
	v_add_co_u32_e32 v14, vcc, v17, v14
	v_addc_co_u32_e32 v15, vcc, 0, v15, vcc
	v_add_co_u32_e32 v12, vcc, v12, v14
	v_addc_co_u32_e32 v13, vcc, v13, v15, vcc
	v_ashrrev_i32_e32 v14, 31, v11
	v_add_co_u32_e32 v10, vcc, v10, v14
	v_addc_co_u32_e32 v11, vcc, v11, v14, vcc
	v_xor_b32_e32 v17, v10, v14
	v_xor_b32_e32 v15, v11, v14
	v_mad_u64_u32 v[10:11], s[24:25], v17, v13, 0
	v_mul_hi_u32 v18, v17, v12
	v_add_co_u32_e32 v18, vcc, v18, v10
	v_addc_co_u32_e32 v19, vcc, 0, v11, vcc
	v_mad_u64_u32 v[10:11], s[24:25], v15, v13, 0
	v_mad_u64_u32 v[12:13], s[24:25], v15, v12, 0
	v_add_co_u32_e32 v12, vcc, v18, v12
	v_addc_co_u32_e32 v12, vcc, v19, v13, vcc
	v_addc_co_u32_e32 v11, vcc, 0, v11, vcc
	v_add_co_u32_e32 v10, vcc, v12, v10
	v_addc_co_u32_e32 v13, vcc, 0, v11, vcc
	v_mad_u64_u32 v[10:11], s[24:25], s21, v10, 0
	v_mov_b32_e32 v12, v11
	v_mad_u64_u32 v[12:13], s[24:25], s21, v13, v[12:13]
	v_sub_co_u32_e32 v10, vcc, v17, v10
	v_subb_co_u32_e32 v11, vcc, v15, v12, vcc
	v_subrev_co_u32_e32 v12, vcc, s21, v10
	v_subbrev_co_u32_e32 v13, vcc, 0, v11, vcc
	v_subrev_co_u32_e32 v15, vcc, s21, v12
	v_cmp_le_u32_e32 vcc, s21, v12
	v_cndmask_b32_e64 v17, 0, -1, vcc
	v_cmp_eq_u32_e32 vcc, 0, v13
	v_cndmask_b32_e32 v13, -1, v17, vcc
	v_cmp_le_u32_e32 vcc, s21, v10
	v_cndmask_b32_e64 v17, 0, -1, vcc
	v_cmp_eq_u32_e32 vcc, 0, v11
	v_cndmask_b32_e32 v11, -1, v17, vcc
	v_cmp_ne_u32_e32 vcc, 0, v13
	v_cndmask_b32_e32 v12, v12, v15, vcc
	v_cmp_ne_u32_e32 vcc, 0, v11
	v_cndmask_b32_e32 v10, v10, v12, vcc
	v_xor_b32_e32 v10, v10, v14
	v_sub_co_u32_e32 v12, vcc, v10, v14
                                        ; implicit-def: $vgpr10_vgpr11
.LBB4_44:                               ;   in Loop: Header=BB4_39 Depth=1
	s_andn2_saveexec_b64 s[0:1], s[0:1]
	s_cbranch_execz .LBB4_46
; %bb.45:                               ;   in Loop: Header=BB4_39 Depth=1
	v_cvt_f32_u32_e32 v11, s21
	s_sub_i32 s23, 0, s21
	v_rcp_iflag_f32_e32 v11, v11
	v_mul_f32_e32 v11, 0x4f7ffffe, v11
	v_cvt_u32_f32_e32 v11, v11
	v_mul_lo_u32 v12, s23, v11
	v_mul_hi_u32 v12, v11, v12
	v_add_u32_e32 v11, v11, v12
	v_mul_hi_u32 v11, v10, v11
	v_mul_lo_u32 v11, v11, s21
	v_sub_u32_e32 v10, v10, v11
	v_subrev_u32_e32 v11, s21, v10
	v_cmp_le_u32_e32 vcc, s21, v10
	v_cndmask_b32_e32 v10, v10, v11, vcc
	v_subrev_u32_e32 v11, s21, v10
	v_cmp_le_u32_e32 vcc, s21, v10
	v_cndmask_b32_e32 v12, v10, v11, vcc
.LBB4_46:                               ;   in Loop: Header=BB4_39 Depth=1
	s_or_b64 exec, exec, s[0:1]
	v_lshlrev_b64 v[10:11], 1, v[4:5]
	v_mov_b32_e32 v4, s9
	v_add_co_u32_e32 v14, vcc, s8, v10
	v_addc_co_u32_e32 v15, vcc, v4, v11, vcc
	global_load_dwordx2 v[14:15], v[14:15], off
	s_andn2_b64 vcc, exec, s[6:7]
	s_cbranch_vccnz .LBB4_48
; %bb.47:                               ;   in Loop: Header=BB4_39 Depth=1
	v_mov_b32_e32 v13, v5
	v_lshlrev_b64 v[18:19], 1, v[12:13]
	v_mov_b32_e32 v4, s11
	v_add_co_u32_e32 v18, vcc, s10, v18
	v_addc_co_u32_e32 v19, vcc, v4, v19, vcc
	global_load_ushort v4, v[18:19], off
	s_waitcnt vmcnt(0)
	v_cvt_f32_f16_e32 v6, v4
.LBB4_48:                               ;   in Loop: Header=BB4_39 Depth=1
	s_andn2_b64 vcc, exec, s[14:15]
	s_cbranch_vccnz .LBB4_38
; %bb.49:                               ;   in Loop: Header=BB4_39 Depth=1
	v_mov_b32_e32 v13, v5
	v_lshlrev_b64 v[12:13], 1, v[12:13]
	v_mov_b32_e32 v4, s13
	v_add_co_u32_e32 v12, vcc, s12, v12
	v_addc_co_u32_e32 v13, vcc, v4, v13, vcc
	global_load_ushort v4, v[12:13], off
	s_waitcnt vmcnt(0)
	v_cvt_f32_f16_e32 v8, v4
	s_branch .LBB4_38
.LBB4_50:                               ;   in Loop: Header=BB4_39 Depth=1
                                        ; implicit-def: $vgpr10_vgpr11
	s_branch .LBB4_41
.LBB4_51:
	s_endpgm
.LBB4_52:
                                        ; implicit-def: $sgpr20_sgpr21
	s_branch .LBB4_2
	.section	.rodata,"a",@progbits
	.p2align	6, 0x0
	.amdhsa_kernel _ZN12_GLOBAL__N_130groupnorm_kernel_dispatch_downI6__halfLj1024EEEvjjlfbPKT_S4_S4_PKfS6_PS2_
		.amdhsa_group_segment_fixed_size 128
		.amdhsa_private_segment_fixed_size 0
		.amdhsa_kernarg_size 328
		.amdhsa_user_sgpr_count 6
		.amdhsa_user_sgpr_private_segment_buffer 1
		.amdhsa_user_sgpr_dispatch_ptr 0
		.amdhsa_user_sgpr_queue_ptr 0
		.amdhsa_user_sgpr_kernarg_segment_ptr 1
		.amdhsa_user_sgpr_dispatch_id 0
		.amdhsa_user_sgpr_flat_scratch_init 0
		.amdhsa_user_sgpr_kernarg_preload_length 0
		.amdhsa_user_sgpr_kernarg_preload_offset 0
		.amdhsa_user_sgpr_private_segment_size 0
		.amdhsa_uses_dynamic_stack 0
		.amdhsa_system_sgpr_private_segment_wavefront_offset 0
		.amdhsa_system_sgpr_workgroup_id_x 1
		.amdhsa_system_sgpr_workgroup_id_y 1
		.amdhsa_system_sgpr_workgroup_id_z 0
		.amdhsa_system_sgpr_workgroup_info 0
		.amdhsa_system_vgpr_workitem_id 0
		.amdhsa_next_free_vgpr 22
		.amdhsa_next_free_sgpr 32
		.amdhsa_accum_offset 24
		.amdhsa_reserve_vcc 1
		.amdhsa_reserve_flat_scratch 0
		.amdhsa_float_round_mode_32 0
		.amdhsa_float_round_mode_16_64 0
		.amdhsa_float_denorm_mode_32 3
		.amdhsa_float_denorm_mode_16_64 3
		.amdhsa_dx10_clamp 1
		.amdhsa_ieee_mode 1
		.amdhsa_fp16_overflow 0
		.amdhsa_tg_split 0
		.amdhsa_exception_fp_ieee_invalid_op 0
		.amdhsa_exception_fp_denorm_src 0
		.amdhsa_exception_fp_ieee_div_zero 0
		.amdhsa_exception_fp_ieee_overflow 0
		.amdhsa_exception_fp_ieee_underflow 0
		.amdhsa_exception_fp_ieee_inexact 0
		.amdhsa_exception_int_div_zero 0
	.end_amdhsa_kernel
	.section	.text._ZN12_GLOBAL__N_130groupnorm_kernel_dispatch_downI6__halfLj1024EEEvjjlfbPKT_S4_S4_PKfS6_PS2_,"axG",@progbits,_ZN12_GLOBAL__N_130groupnorm_kernel_dispatch_downI6__halfLj1024EEEvjjlfbPKT_S4_S4_PKfS6_PS2_,comdat
.Lfunc_end4:
	.size	_ZN12_GLOBAL__N_130groupnorm_kernel_dispatch_downI6__halfLj1024EEEvjjlfbPKT_S4_S4_PKfS6_PS2_, .Lfunc_end4-_ZN12_GLOBAL__N_130groupnorm_kernel_dispatch_downI6__halfLj1024EEEvjjlfbPKT_S4_S4_PKfS6_PS2_
                                        ; -- End function
	.section	.AMDGPU.csdata,"",@progbits
; Kernel info:
; codeLenInByte = 5320
; NumSgprs: 36
; NumVgprs: 22
; NumAgprs: 0
; TotalNumVgprs: 22
; ScratchSize: 0
; MemoryBound: 0
; FloatMode: 240
; IeeeMode: 1
; LDSByteSize: 128 bytes/workgroup (compile time only)
; SGPRBlocks: 4
; VGPRBlocks: 2
; NumSGPRsForWavesPerEU: 36
; NumVGPRsForWavesPerEU: 22
; AccumOffset: 24
; Occupancy: 8
; WaveLimiterHint : 0
; COMPUTE_PGM_RSRC2:SCRATCH_EN: 0
; COMPUTE_PGM_RSRC2:USER_SGPR: 6
; COMPUTE_PGM_RSRC2:TRAP_HANDLER: 0
; COMPUTE_PGM_RSRC2:TGID_X_EN: 1
; COMPUTE_PGM_RSRC2:TGID_Y_EN: 1
; COMPUTE_PGM_RSRC2:TGID_Z_EN: 0
; COMPUTE_PGM_RSRC2:TIDIG_COMP_CNT: 0
; COMPUTE_PGM_RSRC3_GFX90A:ACCUM_OFFSET: 5
; COMPUTE_PGM_RSRC3_GFX90A:TG_SPLIT: 0
	.section	.text._ZN12_GLOBAL__N_128groupnorm_kernel_dispatch_upI14__hip_bfloat16Lj1024EEEvjjlbPKT_PfS5_,"axG",@progbits,_ZN12_GLOBAL__N_128groupnorm_kernel_dispatch_upI14__hip_bfloat16Lj1024EEEvjjlbPKT_PfS5_,comdat
	.globl	_ZN12_GLOBAL__N_128groupnorm_kernel_dispatch_upI14__hip_bfloat16Lj1024EEEvjjlbPKT_PfS5_ ; -- Begin function _ZN12_GLOBAL__N_128groupnorm_kernel_dispatch_upI14__hip_bfloat16Lj1024EEEvjjlbPKT_PfS5_
	.p2align	8
	.type	_ZN12_GLOBAL__N_128groupnorm_kernel_dispatch_upI14__hip_bfloat16Lj1024EEEvjjlbPKT_PfS5_,@function
_ZN12_GLOBAL__N_128groupnorm_kernel_dispatch_upI14__hip_bfloat16Lj1024EEEvjjlbPKT_PfS5_: ; @_ZN12_GLOBAL__N_128groupnorm_kernel_dispatch_upI14__hip_bfloat16Lj1024EEEvjjlbPKT_PfS5_
; %bb.0:
	s_load_dword s16, s[4:5], 0x30
	s_add_u32 s8, s4, 48
	s_addc_u32 s9, s5, 0
	v_mov_b32_e32 v1, 0
	s_mov_b32 s10, 0
	s_waitcnt lgkmcnt(0)
	s_cmp_lt_u32 s6, s16
	s_cselect_b32 s0, 12, 18
	s_add_u32 s0, s8, s0
	s_addc_u32 s1, s9, 0
	global_load_ushort v1, v1, s[0:1]
	s_load_dwordx4 s[0:3], s[4:5], 0x0
	s_waitcnt lgkmcnt(0)
	s_mul_i32 s3, s1, s3
	s_mul_hi_u32 s11, s1, s2
	s_add_i32 s11, s11, s3
	s_cmp_lg_u64 s[10:11], 0
	s_mul_i32 s1, s1, s2
	s_cbranch_scc0 .LBB5_26
; %bb.1:
	v_cvt_f32_u32_e32 v2, s0
	v_cvt_f32_ubyte0_e32 v3, 0
	s_sub_u32 s10, 0, s0
	s_subb_u32 s12, 0, 0
	v_madmk_f32 v2, v3, 0x4f800000, v2
	v_rcp_f32_e32 v2, v2
	v_mul_f32_e32 v2, 0x5f7ffffc, v2
	v_mul_f32_e32 v3, 0x2f800000, v2
	v_trunc_f32_e32 v3, v3
	v_madmk_f32 v2, v3, 0xcf800000, v2
	v_cvt_u32_f32_e32 v3, v3
	v_cvt_u32_f32_e32 v2, v2
	v_readfirstlane_b32 s13, v3
	v_readfirstlane_b32 s14, v2
	s_mul_i32 s15, s10, s13
	s_mul_hi_u32 s18, s10, s14
	s_mul_i32 s17, s12, s14
	s_add_i32 s15, s18, s15
	s_add_i32 s15, s15, s17
	s_mul_i32 s19, s10, s14
	s_mul_hi_u32 s17, s14, s15
	s_mul_i32 s18, s14, s15
	s_mul_hi_u32 s14, s14, s19
	s_add_u32 s14, s14, s18
	s_addc_u32 s17, 0, s17
	s_mul_hi_u32 s20, s13, s19
	s_mul_i32 s19, s13, s19
	s_add_u32 s14, s14, s19
	s_mul_hi_u32 s18, s13, s15
	s_addc_u32 s14, s17, s20
	s_addc_u32 s17, s18, 0
	s_mul_i32 s15, s13, s15
	s_add_u32 s14, s14, s15
	s_addc_u32 s15, 0, s17
	v_add_co_u32_e32 v2, vcc, s14, v2
	s_cmp_lg_u64 vcc, 0
	s_addc_u32 s13, s13, s15
	v_readfirstlane_b32 s15, v2
	s_mul_i32 s14, s10, s13
	s_mul_hi_u32 s17, s10, s15
	s_add_i32 s14, s17, s14
	s_mul_i32 s12, s12, s15
	s_add_i32 s14, s14, s12
	s_mul_i32 s10, s10, s15
	s_mul_hi_u32 s17, s13, s10
	s_mul_i32 s18, s13, s10
	s_mul_i32 s20, s15, s14
	s_mul_hi_u32 s10, s15, s10
	s_mul_hi_u32 s19, s15, s14
	s_add_u32 s10, s10, s20
	s_addc_u32 s15, 0, s19
	s_add_u32 s10, s10, s18
	s_mul_hi_u32 s12, s13, s14
	s_addc_u32 s10, s15, s17
	s_addc_u32 s12, s12, 0
	s_mul_i32 s14, s13, s14
	s_add_u32 s10, s10, s14
	s_addc_u32 s12, 0, s12
	v_add_co_u32_e32 v2, vcc, s10, v2
	s_cmp_lg_u64 vcc, 0
	s_addc_u32 s14, s13, s12
	s_ashr_i32 s12, s11, 31
	s_add_u32 s10, s1, s12
	s_mov_b32 s13, s12
	s_addc_u32 s11, s11, s12
	s_xor_b64 s[10:11], s[10:11], s[12:13]
	v_readfirstlane_b32 s18, v2
	s_mul_i32 s17, s10, s14
	s_mul_hi_u32 s19, s10, s18
	s_mul_hi_u32 s15, s10, s14
	s_add_u32 s17, s19, s17
	s_addc_u32 s15, 0, s15
	s_mul_hi_u32 s20, s11, s18
	s_mul_i32 s18, s11, s18
	s_add_u32 s17, s17, s18
	s_mul_hi_u32 s19, s11, s14
	s_addc_u32 s15, s15, s20
	s_addc_u32 s17, s19, 0
	s_mul_i32 s14, s11, s14
	s_add_u32 s14, s15, s14
	s_addc_u32 s15, 0, s17
	s_add_u32 s17, s14, 1
	s_addc_u32 s18, s15, 0
	s_add_u32 s19, s14, 2
	s_mul_i32 s21, s0, s15
	s_mul_hi_u32 s22, s0, s14
	s_addc_u32 s20, s15, 0
	s_add_i32 s22, s22, s21
	s_mul_i32 s21, s0, s14
	v_mov_b32_e32 v2, s21
	v_sub_co_u32_e32 v2, vcc, s10, v2
	s_cmp_lg_u64 vcc, 0
	s_subb_u32 s10, s11, s22
	v_subrev_co_u32_e32 v3, vcc, s0, v2
	s_cmp_lg_u64 vcc, 0
	s_subb_u32 s11, s10, 0
	v_readfirstlane_b32 s21, v3
	s_cmp_ge_u32 s21, s0
	s_cselect_b32 s21, -1, 0
	s_cmp_eq_u32 s11, 0
	s_cselect_b32 s11, s21, -1
	s_cmp_lg_u32 s11, 0
	s_cselect_b32 s11, s20, s18
	v_readfirstlane_b32 s18, v2
	s_cselect_b32 s17, s19, s17
	s_cmp_ge_u32 s18, s0
	s_cselect_b32 s18, -1, 0
	s_cmp_eq_u32 s10, 0
	s_cselect_b32 s10, s18, -1
	s_cmp_lg_u32 s10, 0
	s_cselect_b32 s11, s11, s15
	s_cselect_b32 s10, s17, s14
	s_xor_b64 s[10:11], s[10:11], s[12:13]
	s_sub_u32 s10, s10, s12
	s_cbranch_execnz .LBB5_3
.LBB5_2:
	v_cvt_f32_u32_e32 v2, s0
	s_sub_i32 s2, 0, s0
	v_rcp_iflag_f32_e32 v2, v2
	v_mul_f32_e32 v2, 0x4f7ffffe, v2
	v_cvt_u32_f32_e32 v2, v2
	v_readfirstlane_b32 s3, v2
	s_mul_i32 s2, s2, s3
	s_mul_hi_u32 s2, s3, s2
	s_add_i32 s3, s3, s2
	s_mul_hi_u32 s2, s1, s3
	s_mul_i32 s10, s2, s0
	s_sub_i32 s1, s1, s10
	s_add_i32 s3, s2, 1
	s_sub_i32 s10, s1, s0
	s_cmp_ge_u32 s1, s0
	s_cselect_b32 s2, s3, s2
	s_cselect_b32 s1, s10, s1
	s_add_i32 s3, s2, 1
	s_cmp_ge_u32 s1, s0
	s_cselect_b32 s10, s3, s2
.LBB5_3:
	s_load_dword s11, s[4:5], 0x10
	s_load_dwordx4 s[0:3], s[4:5], 0x18
	s_waitcnt vmcnt(0)
	v_and_b32_e32 v1, 0xffff, v1
	v_mul_lo_u32 v1, s6, v1
	v_add_u32_e32 v1, v1, v0
	s_waitcnt lgkmcnt(0)
	s_bitcmp1_b32 s11, 0
	s_cselect_b64 s[12:13], -1, 0
	s_and_b64 vcc, exec, s[12:13]
	s_cbranch_vccnz .LBB5_9
; %bb.4:
	v_mov_b32_e32 v3, 0
	v_cmp_gt_u32_e32 vcc, s10, v1
	v_mov_b32_e32 v2, v3
	s_and_saveexec_b64 s[12:13], vcc
	s_cbranch_execz .LBB5_8
; %bb.5:
	s_load_dword s17, s[8:9], 0x10
	v_mov_b32_e32 v2, 0
	s_mul_i32 s11, s7, s10
	s_mov_b64 s[14:15], 0
	v_mov_b32_e32 v5, 0
	s_waitcnt lgkmcnt(0)
	s_lshr_b32 s17, s17, 16
	s_cmp_lg_u32 s17, 0
	s_cselect_b64 s[18:19], -1, 0
	s_cmp_lg_u64 s[18:19], 0
	s_addc_u32 s17, s16, 0
	s_lshl_b32 s17, s17, 10
	v_mov_b32_e32 v6, s1
	v_mov_b32_e32 v7, v1
	;; [unrolled: 1-line block ×3, first 2 shown]
.LBB5_6:                                ; =>This Inner Loop Header: Depth=1
	v_add_u32_e32 v4, s11, v7
	v_lshlrev_b64 v[8:9], 1, v[4:5]
	v_add_co_u32_e32 v8, vcc, s0, v8
	v_addc_co_u32_e32 v9, vcc, v6, v9, vcc
	global_load_ushort v4, v[8:9], off
	v_add_u32_e32 v7, s17, v7
	v_cmp_le_u32_e32 vcc, s10, v7
	s_or_b64 s[14:15], vcc, s[14:15]
	s_waitcnt vmcnt(0)
	v_lshlrev_b32_e32 v8, 16, v4
	v_mul_f32_e32 v9, v8, v8
	v_pk_add_f32 v[2:3], v[2:3], v[8:9]
	s_andn2_b64 exec, exec, s[14:15]
	s_cbranch_execnz .LBB5_6
; %bb.7:
	s_or_b64 exec, exec, s[14:15]
.LBB5_8:
	s_or_b64 exec, exec, s[12:13]
	s_cbranch_execz .LBB5_10
	s_branch .LBB5_15
.LBB5_9:
                                        ; implicit-def: $vgpr3
.LBB5_10:
	v_lshlrev_b32_e32 v1, 2, v1
	v_mov_b32_e32 v3, 0
	v_cmp_gt_u32_e32 vcc, s10, v1
	v_mov_b32_e32 v2, v3
	s_and_saveexec_b64 s[12:13], vcc
	s_cbranch_execz .LBB5_14
; %bb.11:
	s_load_dword s14, s[8:9], 0x10
	v_mov_b32_e32 v2, 0
	s_mul_i32 s11, s7, s10
	s_mov_b64 s[8:9], 0
	v_mov_b32_e32 v5, 0
	s_waitcnt lgkmcnt(0)
	s_lshr_b32 s14, s14, 16
	s_cmp_lg_u32 s14, 0
	s_cselect_b64 s[14:15], -1, 0
	s_cmp_lg_u64 s[14:15], 0
	s_addc_u32 s14, s16, 0
	s_lshl_b32 s14, s14, 12
	v_mov_b32_e32 v6, s1
	v_mov_b32_e32 v3, v2
.LBB5_12:                               ; =>This Inner Loop Header: Depth=1
	v_add_u32_e32 v4, s11, v1
	v_lshlrev_b64 v[8:9], 1, v[4:5]
	v_add_co_u32_e32 v8, vcc, s0, v8
	v_addc_co_u32_e32 v9, vcc, v6, v9, vcc
	global_load_dwordx2 v[8:9], v[8:9], off
	v_add_u32_e32 v1, s14, v1
	v_cmp_le_u32_e32 vcc, s10, v1
	s_or_b64 s[8:9], vcc, s[8:9]
	s_waitcnt vmcnt(0)
	v_lshlrev_b32_e32 v12, 16, v8
	v_and_b32_e32 v10, 0xffff0000, v8
	v_alignbit_b32 v4, v9, v8, 16
	v_mul_f32_e32 v13, v12, v12
	v_mul_f32_e32 v11, v10, v10
	v_and_b32_e32 v14, 0xffff0000, v4
	v_pk_add_f32 v[2:3], v[2:3], v[12:13]
	v_and_b32_e32 v8, 0xffff0000, v9
	v_mul_f32_e32 v15, v14, v14
	v_pk_add_f32 v[2:3], v[2:3], v[10:11]
	v_mul_f32_e32 v9, v8, v8
	v_pk_add_f32 v[2:3], v[2:3], v[14:15]
	v_pk_add_f32 v[2:3], v[2:3], v[8:9]
	s_andn2_b64 exec, exec, s[8:9]
	s_cbranch_execnz .LBB5_12
; %bb.13:
	s_or_b64 exec, exec, s[8:9]
.LBB5_14:
	s_or_b64 exec, exec, s[12:13]
.LBB5_15:
	v_mbcnt_lo_u32_b32 v1, -1, 0
	v_mbcnt_hi_u32_b32 v13, -1, v1
	v_and_b32_e32 v14, 63, v13
	v_cmp_gt_u32_e32 vcc, 32, v14
	v_cndmask_b32_e64 v1, 0, 1, vcc
	v_lshlrev_b32_e32 v1, 5, v1
	v_add_lshl_u32 v1, v1, v13, 2
	ds_bpermute_b32 v4, v1, v2
	ds_bpermute_b32 v5, v1, v3
	v_cmp_gt_u32_e32 vcc, 48, v14
	v_cndmask_b32_e64 v6, 0, 1, vcc
	v_lshlrev_b32_e32 v6, 4, v6
	v_add_lshl_u32 v6, v6, v13, 2
	s_waitcnt lgkmcnt(0)
	v_pk_add_f32 v[2:3], v[2:3], v[4:5]
	ds_bpermute_b32 v8, v6, v2
	ds_bpermute_b32 v9, v6, v3
	v_cmp_gt_u32_e32 vcc, 56, v14
	v_cndmask_b32_e64 v4, 0, 1, vcc
	v_lshlrev_b32_e32 v4, 3, v4
	v_add_lshl_u32 v7, v4, v13, 2
	s_waitcnt lgkmcnt(0)
	v_pk_add_f32 v[2:3], v[2:3], v[8:9]
	;; [unrolled: 8-line block ×4, first 2 shown]
	ds_bpermute_b32 v10, v9, v2
	ds_bpermute_b32 v11, v9, v3
	v_cmp_ne_u32_e32 vcc, 63, v14
	v_addc_co_u32_e32 v4, vcc, 0, v13, vcc
	s_waitcnt lgkmcnt(0)
	v_pk_add_f32 v[2:3], v[2:3], v[10:11]
	v_lshlrev_b32_e32 v10, 2, v4
	ds_bpermute_b32 v4, v10, v2
	ds_bpermute_b32 v5, v10, v3
	v_and_b32_e32 v11, 63, v0
	v_cmp_eq_u32_e32 vcc, 0, v11
	s_and_saveexec_b64 s[0:1], vcc
	s_cbranch_execz .LBB5_17
; %bb.16:
	v_lshrrev_b32_e32 v12, 3, v0
	s_waitcnt lgkmcnt(0)
	v_pk_add_f32 v[2:3], v[2:3], v[4:5]
	ds_write2_b32 v12, v2, v3 offset1:1
.LBB5_17:
	s_or_b64 exec, exec, s[0:1]
	v_cmp_gt_u32_e32 vcc, 16, v0
	s_waitcnt lgkmcnt(1)
	v_lshlrev_b32_e32 v4, 3, v11
	v_mov_b32_e32 v3, 0
	v_mov_b32_e32 v2, 0
	s_waitcnt lgkmcnt(0)
	s_barrier
	s_and_saveexec_b64 s[0:1], vcc
	s_cbranch_execnz .LBB5_24
; %bb.18:
	s_or_b64 exec, exec, s[0:1]
	s_and_saveexec_b64 s[0:1], vcc
	s_cbranch_execnz .LBB5_25
.LBB5_19:
	s_or_b64 exec, exec, s[0:1]
	v_cmp_gt_u32_e32 vcc, 64, v0
	s_and_saveexec_b64 s[0:1], vcc
	s_cbranch_execz .LBB5_21
.LBB5_20:
	s_waitcnt lgkmcnt(0)
	ds_bpermute_b32 v4, v1, v2
	ds_bpermute_b32 v5, v1, v3
	s_waitcnt lgkmcnt(0)
	v_pk_add_f32 v[2:3], v[2:3], v[4:5]
	ds_bpermute_b32 v12, v6, v2
	ds_bpermute_b32 v13, v6, v3
	s_waitcnt lgkmcnt(0)
	v_pk_add_f32 v[2:3], v[2:3], v[12:13]
	;; [unrolled: 4-line block ×6, first 2 shown]
.LBB5_21:
	s_or_b64 exec, exec, s[0:1]
	s_mov_b32 s1, 0
	v_cmp_eq_u32_e32 vcc, 0, v0
	s_and_saveexec_b64 s[8:9], vcc
	s_cbranch_execz .LBB5_23
; %bb.22:
	s_load_dwordx2 s[4:5], s[4:5], 0x28
	s_mul_i32 s0, s16, s7
	s_add_i32 s0, s0, s6
	s_lshl_b64 s[0:1], s[0:1], 2
	s_add_u32 s2, s2, s0
	s_addc_u32 s3, s3, s1
	s_waitcnt lgkmcnt(0)
	s_add_u32 s0, s4, s0
	v_mov_b32_e32 v0, 0
	s_addc_u32 s1, s5, s1
	global_store_dword v0, v2, s[2:3]
	global_store_dword v0, v3, s[0:1]
.LBB5_23:
	s_endpgm
.LBB5_24:
	ds_read_b32 v2, v4
	s_or_b64 exec, exec, s[0:1]
	s_and_saveexec_b64 s[0:1], vcc
	s_cbranch_execz .LBB5_19
.LBB5_25:
	ds_read_b32 v3, v4 offset:4
	s_or_b64 exec, exec, s[0:1]
	v_cmp_gt_u32_e32 vcc, 64, v0
	s_and_saveexec_b64 s[0:1], vcc
	s_cbranch_execnz .LBB5_20
	s_branch .LBB5_21
.LBB5_26:
                                        ; implicit-def: $sgpr10_sgpr11
	s_branch .LBB5_2
	.section	.rodata,"a",@progbits
	.p2align	6, 0x0
	.amdhsa_kernel _ZN12_GLOBAL__N_128groupnorm_kernel_dispatch_upI14__hip_bfloat16Lj1024EEEvjjlbPKT_PfS5_
		.amdhsa_group_segment_fixed_size 128
		.amdhsa_private_segment_fixed_size 0
		.amdhsa_kernarg_size 304
		.amdhsa_user_sgpr_count 6
		.amdhsa_user_sgpr_private_segment_buffer 1
		.amdhsa_user_sgpr_dispatch_ptr 0
		.amdhsa_user_sgpr_queue_ptr 0
		.amdhsa_user_sgpr_kernarg_segment_ptr 1
		.amdhsa_user_sgpr_dispatch_id 0
		.amdhsa_user_sgpr_flat_scratch_init 0
		.amdhsa_user_sgpr_kernarg_preload_length 0
		.amdhsa_user_sgpr_kernarg_preload_offset 0
		.amdhsa_user_sgpr_private_segment_size 0
		.amdhsa_uses_dynamic_stack 0
		.amdhsa_system_sgpr_private_segment_wavefront_offset 0
		.amdhsa_system_sgpr_workgroup_id_x 1
		.amdhsa_system_sgpr_workgroup_id_y 1
		.amdhsa_system_sgpr_workgroup_id_z 0
		.amdhsa_system_sgpr_workgroup_info 0
		.amdhsa_system_vgpr_workitem_id 0
		.amdhsa_next_free_vgpr 16
		.amdhsa_next_free_sgpr 23
		.amdhsa_accum_offset 16
		.amdhsa_reserve_vcc 1
		.amdhsa_reserve_flat_scratch 0
		.amdhsa_float_round_mode_32 0
		.amdhsa_float_round_mode_16_64 0
		.amdhsa_float_denorm_mode_32 3
		.amdhsa_float_denorm_mode_16_64 3
		.amdhsa_dx10_clamp 1
		.amdhsa_ieee_mode 1
		.amdhsa_fp16_overflow 0
		.amdhsa_tg_split 0
		.amdhsa_exception_fp_ieee_invalid_op 0
		.amdhsa_exception_fp_denorm_src 0
		.amdhsa_exception_fp_ieee_div_zero 0
		.amdhsa_exception_fp_ieee_overflow 0
		.amdhsa_exception_fp_ieee_underflow 0
		.amdhsa_exception_fp_ieee_inexact 0
		.amdhsa_exception_int_div_zero 0
	.end_amdhsa_kernel
	.section	.text._ZN12_GLOBAL__N_128groupnorm_kernel_dispatch_upI14__hip_bfloat16Lj1024EEEvjjlbPKT_PfS5_,"axG",@progbits,_ZN12_GLOBAL__N_128groupnorm_kernel_dispatch_upI14__hip_bfloat16Lj1024EEEvjjlbPKT_PfS5_,comdat
.Lfunc_end5:
	.size	_ZN12_GLOBAL__N_128groupnorm_kernel_dispatch_upI14__hip_bfloat16Lj1024EEEvjjlbPKT_PfS5_, .Lfunc_end5-_ZN12_GLOBAL__N_128groupnorm_kernel_dispatch_upI14__hip_bfloat16Lj1024EEEvjjlbPKT_PfS5_
                                        ; -- End function
	.section	.AMDGPU.csdata,"",@progbits
; Kernel info:
; codeLenInByte = 1836
; NumSgprs: 27
; NumVgprs: 16
; NumAgprs: 0
; TotalNumVgprs: 16
; ScratchSize: 0
; MemoryBound: 0
; FloatMode: 240
; IeeeMode: 1
; LDSByteSize: 128 bytes/workgroup (compile time only)
; SGPRBlocks: 3
; VGPRBlocks: 1
; NumSGPRsForWavesPerEU: 27
; NumVGPRsForWavesPerEU: 16
; AccumOffset: 16
; Occupancy: 8
; WaveLimiterHint : 0
; COMPUTE_PGM_RSRC2:SCRATCH_EN: 0
; COMPUTE_PGM_RSRC2:USER_SGPR: 6
; COMPUTE_PGM_RSRC2:TRAP_HANDLER: 0
; COMPUTE_PGM_RSRC2:TGID_X_EN: 1
; COMPUTE_PGM_RSRC2:TGID_Y_EN: 1
; COMPUTE_PGM_RSRC2:TGID_Z_EN: 0
; COMPUTE_PGM_RSRC2:TIDIG_COMP_CNT: 0
; COMPUTE_PGM_RSRC3_GFX90A:ACCUM_OFFSET: 3
; COMPUTE_PGM_RSRC3_GFX90A:TG_SPLIT: 0
	.section	.text._ZN12_GLOBAL__N_130groupnorm_kernel_dispatch_downI14__hip_bfloat16Lj1024EEEvjjlfbPKT_S4_S4_PKfS6_PS2_,"axG",@progbits,_ZN12_GLOBAL__N_130groupnorm_kernel_dispatch_downI14__hip_bfloat16Lj1024EEEvjjlfbPKT_S4_S4_PKfS6_PS2_,comdat
	.globl	_ZN12_GLOBAL__N_130groupnorm_kernel_dispatch_downI14__hip_bfloat16Lj1024EEEvjjlfbPKT_S4_S4_PKfS6_PS2_ ; -- Begin function _ZN12_GLOBAL__N_130groupnorm_kernel_dispatch_downI14__hip_bfloat16Lj1024EEEvjjlfbPKT_S4_S4_PKfS6_PS2_
	.p2align	8
	.type	_ZN12_GLOBAL__N_130groupnorm_kernel_dispatch_downI14__hip_bfloat16Lj1024EEEvjjlfbPKT_S4_S4_PKfS6_PS2_,@function
_ZN12_GLOBAL__N_130groupnorm_kernel_dispatch_downI14__hip_bfloat16Lj1024EEEvjjlfbPKT_S4_S4_PKfS6_PS2_: ; @_ZN12_GLOBAL__N_130groupnorm_kernel_dispatch_downI14__hip_bfloat16Lj1024EEEvjjlfbPKT_S4_S4_PKfS6_PS2_
; %bb.0:
	s_load_dword s30, s[4:5], 0x48
	s_add_u32 s0, s4, 0x48
	s_addc_u32 s1, s5, 0
	v_mov_b32_e32 v1, 0
	s_mov_b32 s10, 0
	s_waitcnt lgkmcnt(0)
	s_cmp_lt_u32 s6, s30
	s_cselect_b32 s2, 12, 18
	s_add_u32 s0, s0, s2
	s_addc_u32 s1, s1, 0
	global_load_ushort v1, v1, s[0:1]
	s_load_dwordx4 s[0:3], s[4:5], 0x0
	s_waitcnt lgkmcnt(0)
	s_mul_i32 s8, s1, s3
	s_mul_hi_u32 s9, s1, s2
	s_add_i32 s11, s9, s8
	s_cmp_lg_u64 s[10:11], 0
	s_mul_i32 s10, s1, s2
	s_cbranch_scc0 .LBB6_72
; %bb.1:
	v_cvt_f32_u32_e32 v2, s0
	v_cvt_f32_ubyte0_e32 v3, 0
	s_sub_u32 s12, 0, s0
	s_subb_u32 s13, 0, 0
	v_madmk_f32 v2, v3, 0x4f800000, v2
	v_rcp_f32_e32 v2, v2
	v_mul_f32_e32 v2, 0x5f7ffffc, v2
	v_mul_f32_e32 v3, 0x2f800000, v2
	v_trunc_f32_e32 v3, v3
	v_madmk_f32 v2, v3, 0xcf800000, v2
	v_cvt_u32_f32_e32 v3, v3
	v_cvt_u32_f32_e32 v2, v2
	v_readfirstlane_b32 s14, v3
	v_readfirstlane_b32 s15, v2
	s_mul_i32 s16, s12, s14
	s_mul_hi_u32 s18, s12, s15
	s_mul_i32 s17, s13, s15
	s_add_i32 s16, s18, s16
	s_add_i32 s16, s16, s17
	s_mul_i32 s19, s12, s15
	s_mul_hi_u32 s17, s15, s16
	s_mul_i32 s18, s15, s16
	s_mul_hi_u32 s15, s15, s19
	s_add_u32 s15, s15, s18
	s_addc_u32 s17, 0, s17
	s_mul_hi_u32 s20, s14, s19
	s_mul_i32 s19, s14, s19
	s_add_u32 s15, s15, s19
	s_mul_hi_u32 s18, s14, s16
	s_addc_u32 s15, s17, s20
	s_addc_u32 s17, s18, 0
	s_mul_i32 s16, s14, s16
	s_add_u32 s15, s15, s16
	s_addc_u32 s16, 0, s17
	v_add_co_u32_e32 v2, vcc, s15, v2
	s_cmp_lg_u64 vcc, 0
	s_addc_u32 s14, s14, s16
	v_readfirstlane_b32 s16, v2
	s_mul_i32 s15, s12, s14
	s_mul_hi_u32 s17, s12, s16
	s_add_i32 s15, s17, s15
	s_mul_i32 s13, s13, s16
	s_add_i32 s15, s15, s13
	s_mul_i32 s12, s12, s16
	s_mul_hi_u32 s17, s14, s12
	s_mul_i32 s18, s14, s12
	s_mul_i32 s20, s16, s15
	s_mul_hi_u32 s12, s16, s12
	s_mul_hi_u32 s19, s16, s15
	s_add_u32 s12, s12, s20
	s_addc_u32 s16, 0, s19
	s_add_u32 s12, s12, s18
	s_mul_hi_u32 s13, s14, s15
	s_addc_u32 s12, s16, s17
	s_addc_u32 s13, s13, 0
	s_mul_i32 s15, s14, s15
	s_add_u32 s12, s12, s15
	s_addc_u32 s13, 0, s13
	v_add_co_u32_e32 v2, vcc, s12, v2
	s_cmp_lg_u64 vcc, 0
	s_addc_u32 s16, s14, s13
	s_ashr_i32 s12, s11, 31
	s_add_u32 s14, s10, s12
	s_mov_b32 s13, s12
	s_addc_u32 s15, s11, s12
	s_xor_b64 s[14:15], s[14:15], s[12:13]
	v_readfirstlane_b32 s18, v2
	s_mul_i32 s17, s14, s16
	s_mul_hi_u32 s19, s14, s18
	s_mul_hi_u32 s11, s14, s16
	s_add_u32 s17, s19, s17
	s_addc_u32 s11, 0, s11
	s_mul_hi_u32 s20, s15, s18
	s_mul_i32 s18, s15, s18
	s_add_u32 s17, s17, s18
	s_mul_hi_u32 s19, s15, s16
	s_addc_u32 s11, s11, s20
	s_addc_u32 s17, s19, 0
	s_mul_i32 s16, s15, s16
	s_add_u32 s11, s11, s16
	s_addc_u32 s16, 0, s17
	s_add_u32 s17, s11, 1
	s_addc_u32 s18, s16, 0
	s_add_u32 s19, s11, 2
	s_mul_i32 s21, s0, s16
	s_mul_hi_u32 s22, s0, s11
	s_addc_u32 s20, s16, 0
	s_add_i32 s22, s22, s21
	s_mul_i32 s21, s0, s11
	v_mov_b32_e32 v2, s21
	v_sub_co_u32_e32 v2, vcc, s14, v2
	s_cmp_lg_u64 vcc, 0
	s_subb_u32 s14, s15, s22
	v_subrev_co_u32_e32 v3, vcc, s0, v2
	s_cmp_lg_u64 vcc, 0
	s_subb_u32 s15, s14, 0
	v_readfirstlane_b32 s21, v3
	s_cmp_ge_u32 s21, s0
	s_cselect_b32 s21, -1, 0
	s_cmp_eq_u32 s15, 0
	s_cselect_b32 s15, s21, -1
	s_cmp_lg_u32 s15, 0
	s_cselect_b32 s15, s20, s18
	v_readfirstlane_b32 s18, v2
	s_cselect_b32 s17, s19, s17
	s_cmp_ge_u32 s18, s0
	s_cselect_b32 s18, -1, 0
	s_cmp_eq_u32 s14, 0
	s_cselect_b32 s14, s18, -1
	s_cmp_lg_u32 s14, 0
	s_cselect_b32 s15, s15, s16
	s_cselect_b32 s14, s17, s11
	s_xor_b64 s[14:15], s[14:15], s[12:13]
	s_sub_u32 s20, s14, s12
	s_cbranch_execnz .LBB6_3
.LBB6_2:
	v_cvt_f32_u32_e32 v2, s0
	s_sub_i32 s8, 0, s0
	v_rcp_iflag_f32_e32 v2, v2
	v_mul_f32_e32 v2, 0x4f7ffffe, v2
	v_cvt_u32_f32_e32 v2, v2
	v_readfirstlane_b32 s9, v2
	s_mul_i32 s8, s8, s9
	s_mul_hi_u32 s8, s9, s8
	s_add_i32 s9, s9, s8
	s_mul_hi_u32 s8, s10, s9
	s_mul_i32 s11, s8, s0
	s_sub_i32 s10, s10, s11
	s_add_i32 s9, s8, 1
	s_sub_i32 s11, s10, s0
	s_cmp_ge_u32 s10, s0
	s_cselect_b32 s8, s9, s8
	s_cselect_b32 s10, s11, s10
	s_add_i32 s9, s8, 1
	s_cmp_ge_u32 s10, s0
	s_cselect_b32 s20, s9, s8
.LBB6_3:
	s_load_dwordx8 s[8:15], s[4:5], 0x18
	s_load_dwordx4 s[16:19], s[4:5], 0x38
	v_mov_b32_e32 v3, 0
	v_cmp_gt_u32_e32 vcc, s30, v0
	v_mov_b32_e32 v2, v3
	s_and_saveexec_b64 s[22:23], vcc
	s_cbranch_execz .LBB6_7
; %bb.4:
	v_mov_b32_e32 v2, 0
	s_mul_i32 s0, s30, s7
	s_mov_b64 s[24:25], 0
	v_mov_b32_e32 v5, 0
	s_waitcnt lgkmcnt(0)
	v_mov_b32_e32 v6, s15
	v_mov_b32_e32 v7, s17
	;; [unrolled: 1-line block ×4, first 2 shown]
.LBB6_5:                                ; =>This Inner Loop Header: Depth=1
	v_add_u32_e32 v4, s0, v8
	v_lshlrev_b64 v[10:11], 2, v[4:5]
	v_add_co_u32_e32 v12, vcc, s14, v10
	v_addc_co_u32_e32 v13, vcc, v6, v11, vcc
	v_add_co_u32_e32 v10, vcc, s16, v10
	v_addc_co_u32_e32 v11, vcc, v7, v11, vcc
	global_load_dword v14, v[12:13], off
	global_load_dword v15, v[10:11], off
	v_add_u32_e32 v8, 0x400, v8
	v_cmp_le_u32_e32 vcc, s30, v8
	s_or_b64 s[24:25], vcc, s[24:25]
	s_waitcnt vmcnt(0)
	v_pk_add_f32 v[2:3], v[2:3], v[14:15]
	s_andn2_b64 exec, exec, s[24:25]
	s_cbranch_execnz .LBB6_5
; %bb.6:
	s_or_b64 exec, exec, s[24:25]
.LBB6_7:
	s_or_b64 exec, exec, s[22:23]
	v_mbcnt_lo_u32_b32 v4, -1, 0
	v_mbcnt_hi_u32_b32 v14, -1, v4
	v_and_b32_e32 v15, 63, v14
	v_cmp_gt_u32_e32 vcc, 32, v15
	v_cndmask_b32_e64 v4, 0, 1, vcc
	v_lshlrev_b32_e32 v4, 5, v4
	v_add_lshl_u32 v6, v4, v14, 2
	ds_bpermute_b32 v4, v6, v2
	ds_bpermute_b32 v5, v6, v3
	v_cmp_gt_u32_e32 vcc, 48, v15
	v_cndmask_b32_e64 v7, 0, 1, vcc
	v_lshlrev_b32_e32 v7, 4, v7
	v_add_lshl_u32 v7, v7, v14, 2
	s_waitcnt lgkmcnt(0)
	v_pk_add_f32 v[2:3], v[2:3], v[4:5]
	ds_bpermute_b32 v10, v7, v2
	ds_bpermute_b32 v11, v7, v3
	v_cmp_gt_u32_e32 vcc, 56, v15
	v_cndmask_b32_e64 v4, 0, 1, vcc
	v_lshlrev_b32_e32 v4, 3, v4
	v_add_lshl_u32 v8, v4, v14, 2
	s_waitcnt lgkmcnt(0)
	v_pk_add_f32 v[2:3], v[2:3], v[10:11]
	;; [unrolled: 8-line block ×4, first 2 shown]
	ds_bpermute_b32 v12, v10, v2
	ds_bpermute_b32 v13, v10, v3
	v_cmp_ne_u32_e32 vcc, 63, v15
	v_addc_co_u32_e32 v4, vcc, 0, v14, vcc
	v_lshlrev_b32_e32 v11, 2, v4
	s_waitcnt lgkmcnt(0)
	v_pk_add_f32 v[2:3], v[2:3], v[12:13]
	ds_bpermute_b32 v4, v11, v2
	ds_bpermute_b32 v5, v11, v3
	v_and_b32_e32 v12, 63, v0
	s_mov_b32 s21, s1
	v_cmp_eq_u32_e32 vcc, 0, v12
	s_and_saveexec_b64 s[0:1], vcc
	s_cbranch_execz .LBB6_9
; %bb.8:
	v_lshrrev_b32_e32 v13, 3, v0
	s_waitcnt lgkmcnt(0)
	v_pk_add_f32 v[2:3], v[2:3], v[4:5]
	ds_write2_b32 v13, v2, v3 offset1:1
.LBB6_9:
	s_or_b64 exec, exec, s[0:1]
	v_cmp_gt_u32_e32 vcc, 16, v0
	s_waitcnt lgkmcnt(1)
	v_lshlrev_b32_e32 v4, 3, v12
	v_mov_b32_e32 v3, 0
	v_mov_b32_e32 v2, 0
	s_waitcnt lgkmcnt(0)
	s_barrier
	s_and_saveexec_b64 s[0:1], vcc
	s_cbranch_execnz .LBB6_35
; %bb.10:
	s_or_b64 exec, exec, s[0:1]
	s_and_saveexec_b64 s[0:1], vcc
	s_cbranch_execnz .LBB6_36
.LBB6_11:
	s_or_b64 exec, exec, s[0:1]
	v_cmp_gt_u32_e32 vcc, 64, v0
	s_and_saveexec_b64 s[0:1], vcc
	s_cbranch_execnz .LBB6_37
.LBB6_12:
	s_or_b64 exec, exec, s[0:1]
	v_cmp_eq_u32_e32 vcc, 0, v0
	s_and_saveexec_b64 s[0:1], vcc
	s_cbranch_execz .LBB6_14
.LBB6_13:
	v_mov_b32_e32 v4, 0
	s_waitcnt lgkmcnt(0)
	ds_write_b64 v4, v[2:3]
.LBB6_14:
	s_or_b64 exec, exec, s[0:1]
	s_waitcnt lgkmcnt(0)
	v_mov_b32_e32 v2, 0
	s_barrier
	ds_read_b64 v[2:3], v2
	v_cvt_f32_u32_e32 v4, s20
	s_load_dwordx2 s[0:1], s[4:5], 0x10
	s_waitcnt vmcnt(0)
	v_and_b32_e32 v1, 0xffff, v1
	v_mul_lo_u32 v1, s6, v1
	s_waitcnt lgkmcnt(0)
	v_div_scale_f32 v5, s[4:5], v4, v4, v2
	v_rcp_f32_e32 v6, v5
	s_bitcmp1_b32 s1, 0
	s_cselect_b64 s[4:5], -1, 0
	v_fma_f32 v7, -v5, v6, 1.0
	v_fmac_f32_e32 v6, v7, v6
	v_div_scale_f32 v7, vcc, v2, v4, v2
	v_mul_f32_e32 v8, v7, v6
	v_fma_f32 v9, -v5, v8, v7
	v_fmac_f32_e32 v8, v9, v6
	v_fma_f32 v5, -v5, v8, v7
	v_div_scale_f32 v7, s[14:15], v4, v4, v3
	v_rcp_f32_e32 v9, v7
	v_div_fmas_f32 v5, v5, v6, v8
	v_div_fixup_f32 v8, v5, v4, v2
	v_fma_f32 v2, -v7, v9, 1.0
	v_fmac_f32_e32 v9, v2, v9
	v_div_scale_f32 v2, vcc, v3, v4, v3
	v_mul_f32_e32 v5, v2, v9
	v_fma_f32 v6, -v7, v5, v2
	v_fmac_f32_e32 v5, v6, v9
	v_fma_f32 v2, -v7, v5, v2
	v_div_fmas_f32 v2, v2, v9, v5
	v_div_fixup_f32 v2, v2, v4, v3
	v_fma_f32 v2, -v8, v8, v2
	v_add_f32_e32 v2, s0, v2
	v_cvt_f64_f32_e32 v[2:3], v2
	v_rsq_f64_e32 v[4:5], v[2:3]
	v_add_u32_e32 v6, v1, v0
	s_mov_b32 s0, 0
	s_mov_b32 s1, 0x3fd80000
	v_mul_f64 v[0:1], v[4:5], -v[2:3]
	v_fma_f64 v[0:1], v[0:1], v[4:5], 1.0
	v_mul_f64 v[2:3], v[4:5], v[0:1]
	v_fma_f64 v[0:1], v[0:1], s[0:1], 0.5
	v_fma_f64 v[0:1], v[2:3], v[0:1], v[4:5]
	v_mov_b32_e32 v2, 0x180
	v_cmp_class_f64_e32 vcc, v[4:5], v2
	v_cndmask_b32_e32 v1, v5, v1, vcc
	v_cndmask_b32_e32 v0, v4, v0, vcc
	v_cvt_f32_f64_e32 v9, v[0:1]
	s_mov_b64 s[0:1], -1
	s_and_b64 vcc, exec, s[4:5]
	s_cbranch_vccnz .LBB6_39
; %bb.15:
	v_cmp_gt_u32_e32 vcc, s20, v6
	s_and_saveexec_b64 s[4:5], vcc
	s_cbranch_execz .LBB6_38
; %bb.16:
	v_cvt_f32_u32_e32 v0, s2
	v_cvt_f32_u32_e32 v2, s21
	v_cvt_f32_ubyte0_e32 v3, 0
	s_cmp_lg_u64 s[10:11], 0
	v_rcp_iflag_f32_e32 v0, v0
	v_mac_f32_e32 v2, 0x4f800000, v3
	v_rcp_f32_e32 v2, v2
	s_cselect_b64 s[16:17], -1, 0
	v_mul_f32_e32 v0, 0x4f7ffffe, v0
	v_cvt_u32_f32_e32 v7, v0
	v_mul_f32_e32 v0, 0x5f7ffffc, v2
	v_mul_f32_e32 v2, 0x2f800000, v0
	v_trunc_f32_e32 v2, v2
	v_mac_f32_e32 v0, 0xcf800000, v2
	v_cvt_u32_f32_e32 v10, v0
	v_cvt_u32_f32_e32 v11, v2
	s_cmp_lg_u64 s[12:13], 0
	s_mul_i32 s6, s7, s20
	s_mov_b64 s[14:15], 0
	s_cselect_b64 s[22:23], -1, 0
	s_lshl_b32 s31, s30, 10
	v_mov_b32_e32 v1, 0
	s_mov_b32 s24, 0
	s_mov_b32 s25, s3
	s_ashr_i32 s26, s3, 31
	s_mov_b32 s33, 0x7f800000
	s_movk_i32 s34, 0x7fff
	v_mov_b32_e32 v12, v6
	s_branch .LBB6_18
.LBB6_17:                               ;   in Loop: Header=BB6_18 Depth=1
	s_or_b64 exec, exec, s[0:1]
	v_mov_b32_e32 v4, s19
	v_add_co_u32_e32 v2, vcc, s18, v2
	v_addc_co_u32_e32 v3, vcc, v4, v3, vcc
	v_add_u32_e32 v12, s31, v12
	v_cmp_le_u32_e32 vcc, s20, v12
	s_or_b64 s[14:15], vcc, s[14:15]
	global_store_short_d16_hi v[2:3], v0, off
	s_andn2_b64 exec, exec, s[14:15]
	s_cbranch_execz .LBB6_38
.LBB6_18:                               ; =>This Inner Loop Header: Depth=1
	s_cmp_lg_u64 s[24:25], 0
	v_add_u32_e32 v0, s6, v12
	s_cbranch_scc0 .LBB6_34
; %bb.19:                               ;   in Loop: Header=BB6_18 Depth=1
	s_add_u32 s0, s2, s26
	s_mov_b32 s27, s26
	s_addc_u32 s1, s3, s26
	s_xor_b64 s[28:29], s[0:1], s[26:27]
	v_cvt_f32_u32_e32 v2, s28
	v_cvt_f32_u32_e32 v3, s29
	s_sub_u32 s0, 0, s28
	s_subb_u32 s1, 0, s29
	v_mac_f32_e32 v2, 0x4f800000, v3
	v_rcp_f32_e32 v2, v2
	v_mul_f32_e32 v2, 0x5f7ffffc, v2
	v_mul_f32_e32 v3, 0x2f800000, v2
	v_trunc_f32_e32 v3, v3
	v_mac_f32_e32 v2, 0xcf800000, v3
	v_cvt_u32_f32_e32 v3, v3
	v_cvt_u32_f32_e32 v2, v2
	v_mul_lo_u32 v4, s0, v3
	v_mul_hi_u32 v13, s0, v2
	v_mul_lo_u32 v5, s1, v2
	v_add_u32_e32 v4, v13, v4
	v_mul_lo_u32 v14, s0, v2
	v_add_u32_e32 v4, v4, v5
	v_mul_lo_u32 v13, v2, v4
	v_mul_hi_u32 v15, v2, v14
	v_mul_hi_u32 v5, v2, v4
	v_add_co_u32_e32 v13, vcc, v15, v13
	v_addc_co_u32_e32 v5, vcc, 0, v5, vcc
	v_mul_hi_u32 v16, v3, v14
	v_mul_lo_u32 v14, v3, v14
	v_add_co_u32_e32 v13, vcc, v13, v14
	v_mul_hi_u32 v15, v3, v4
	v_addc_co_u32_e32 v5, vcc, v5, v16, vcc
	v_addc_co_u32_e32 v13, vcc, 0, v15, vcc
	v_mul_lo_u32 v4, v3, v4
	v_add_co_u32_e32 v4, vcc, v5, v4
	v_addc_co_u32_e32 v5, vcc, 0, v13, vcc
	v_add_co_u32_e32 v2, vcc, v2, v4
	v_addc_co_u32_e32 v3, vcc, v3, v5, vcc
	v_mul_lo_u32 v4, s0, v3
	v_mul_hi_u32 v5, s0, v2
	v_add_u32_e32 v4, v5, v4
	v_mul_lo_u32 v5, s1, v2
	v_add_u32_e32 v4, v4, v5
	v_mul_lo_u32 v13, s0, v2
	v_mul_hi_u32 v14, v3, v13
	v_mul_lo_u32 v15, v3, v13
	v_mul_lo_u32 v17, v2, v4
	v_mul_hi_u32 v13, v2, v13
	v_mul_hi_u32 v16, v2, v4
	v_add_co_u32_e32 v13, vcc, v13, v17
	v_addc_co_u32_e32 v16, vcc, 0, v16, vcc
	v_add_co_u32_e32 v13, vcc, v13, v15
	v_mul_hi_u32 v5, v3, v4
	v_addc_co_u32_e32 v13, vcc, v16, v14, vcc
	v_addc_co_u32_e32 v5, vcc, 0, v5, vcc
	v_mul_lo_u32 v4, v3, v4
	v_add_co_u32_e32 v4, vcc, v13, v4
	v_addc_co_u32_e32 v5, vcc, 0, v5, vcc
	v_add_co_u32_e32 v4, vcc, v2, v4
	v_addc_co_u32_e32 v5, vcc, v3, v5, vcc
	v_mad_u64_u32 v[2:3], s[0:1], v0, v5, 0
	v_mul_hi_u32 v13, v0, v4
	v_add_co_u32_e32 v13, vcc, v13, v2
	v_addc_co_u32_e32 v14, vcc, 0, v3, vcc
	v_mad_u64_u32 v[2:3], s[0:1], 0, v5, 0
	v_mad_u64_u32 v[4:5], s[0:1], 0, v4, 0
	v_add_co_u32_e32 v4, vcc, v13, v4
	v_addc_co_u32_e32 v4, vcc, v14, v5, vcc
	v_addc_co_u32_e32 v3, vcc, 0, v3, vcc
	v_add_co_u32_e32 v4, vcc, v4, v2
	v_addc_co_u32_e32 v5, vcc, 0, v3, vcc
	v_mul_lo_u32 v13, s29, v4
	v_mul_lo_u32 v14, s28, v5
	v_mad_u64_u32 v[2:3], s[0:1], s28, v4, 0
	v_add3_u32 v3, v3, v14, v13
	v_sub_u32_e32 v13, 0, v3
	v_mov_b32_e32 v14, s29
	v_sub_co_u32_e32 v2, vcc, v0, v2
	v_subb_co_u32_e64 v13, s[0:1], v13, v14, vcc
	v_subrev_co_u32_e64 v14, s[0:1], s28, v2
	v_subbrev_co_u32_e64 v13, s[0:1], 0, v13, s[0:1]
	v_cmp_le_u32_e64 s[0:1], s29, v13
	v_cndmask_b32_e64 v15, 0, -1, s[0:1]
	v_cmp_le_u32_e64 s[0:1], s28, v14
	v_cndmask_b32_e64 v14, 0, -1, s[0:1]
	v_cmp_eq_u32_e64 s[0:1], s29, v13
	v_cndmask_b32_e64 v13, v15, v14, s[0:1]
	v_add_co_u32_e64 v14, s[0:1], 2, v4
	v_addc_co_u32_e64 v15, s[0:1], 0, v5, s[0:1]
	v_add_co_u32_e64 v16, s[0:1], 1, v4
	v_addc_co_u32_e64 v17, s[0:1], 0, v5, s[0:1]
	v_subb_co_u32_e32 v3, vcc, 0, v3, vcc
	v_cmp_ne_u32_e64 s[0:1], 0, v13
	v_cmp_le_u32_e32 vcc, s29, v3
	v_cndmask_b32_e64 v13, v17, v15, s[0:1]
	v_cndmask_b32_e64 v15, 0, -1, vcc
	v_cmp_le_u32_e32 vcc, s28, v2
	v_cndmask_b32_e64 v2, 0, -1, vcc
	v_cmp_eq_u32_e32 vcc, s29, v3
	v_cndmask_b32_e32 v2, v15, v2, vcc
	v_cmp_ne_u32_e32 vcc, 0, v2
	v_cndmask_b32_e64 v3, v16, v14, s[0:1]
	v_cndmask_b32_e32 v2, v5, v13, vcc
	v_cndmask_b32_e32 v3, v4, v3, vcc
	v_xor_b32_e32 v4, s26, v2
	v_xor_b32_e32 v2, s26, v3
	v_mov_b32_e32 v3, s26
	v_subrev_co_u32_e32 v2, vcc, s26, v2
	v_subb_co_u32_e32 v3, vcc, v4, v3, vcc
	s_cbranch_execnz .LBB6_21
.LBB6_20:                               ;   in Loop: Header=BB6_18 Depth=1
	s_sub_i32 s0, 0, s2
	v_mul_lo_u32 v2, s0, v7
	v_mul_hi_u32 v2, v7, v2
	v_add_u32_e32 v2, v7, v2
	v_mul_hi_u32 v2, v0, v2
	v_mul_lo_u32 v3, v2, s2
	v_sub_u32_e32 v3, v0, v3
	v_subrev_u32_e32 v4, s2, v3
	v_cmp_le_u32_e32 vcc, s2, v3
	v_cndmask_b32_e32 v3, v3, v4, vcc
	v_add_u32_e32 v4, 1, v2
	v_cndmask_b32_e32 v2, v2, v4, vcc
	v_add_u32_e32 v4, 1, v2
	v_cmp_le_u32_e32 vcc, s2, v3
	v_cndmask_b32_e32 v2, v2, v4, vcc
	v_mov_b32_e32 v3, v1
.LBB6_21:                               ;   in Loop: Header=BB6_18 Depth=1
	v_mov_b32_e32 v4, v1
	v_mov_b32_e32 v5, v3
	v_cmp_ne_u64_e32 vcc, 0, v[4:5]
                                        ; implicit-def: $vgpr4_vgpr5
	s_and_saveexec_b64 s[0:1], vcc
	s_xor_b64 s[0:1], exec, s[0:1]
	s_cbranch_execnz .LBB6_26
; %bb.22:                               ;   in Loop: Header=BB6_18 Depth=1
	s_andn2_saveexec_b64 s[0:1], s[0:1]
	s_cbranch_execnz .LBB6_27
.LBB6_23:                               ;   in Loop: Header=BB6_18 Depth=1
	s_or_b64 exec, exec, s[0:1]
	s_andn2_b64 vcc, exec, s[16:17]
	s_cbranch_vccnz .LBB6_28
.LBB6_24:                               ;   in Loop: Header=BB6_18 Depth=1
	v_mov_b32_e32 v5, v1
	v_lshlrev_b64 v[2:3], 1, v[4:5]
	v_mov_b32_e32 v5, s11
	v_add_co_u32_e32 v2, vcc, s10, v2
	v_addc_co_u32_e32 v3, vcc, v5, v3, vcc
	global_load_ushort v2, v[2:3], off
	s_waitcnt vmcnt(0)
	v_lshlrev_b32_e32 v13, 16, v2
	s_andn2_b64 vcc, exec, s[22:23]
	s_cbranch_vccnz .LBB6_29
.LBB6_25:                               ;   in Loop: Header=BB6_18 Depth=1
	v_mov_b32_e32 v5, v1
	v_lshlrev_b64 v[2:3], 1, v[4:5]
	v_mov_b32_e32 v4, s13
	v_add_co_u32_e32 v2, vcc, s12, v2
	v_addc_co_u32_e32 v3, vcc, v4, v3, vcc
	global_load_ushort v2, v[2:3], off
	s_waitcnt vmcnt(0)
	v_lshlrev_b32_e32 v4, 16, v2
	s_branch .LBB6_30
.LBB6_26:                               ;   in Loop: Header=BB6_18 Depth=1
	s_sub_u32 s27, 0, s21
	s_subb_u32 s28, 0, 0
	v_mul_hi_u32 v5, s27, v10
	v_mul_lo_u32 v13, s27, v11
	v_mul_lo_u32 v4, s28, v10
	v_add_u32_e32 v5, v5, v13
	v_add_u32_e32 v4, v5, v4
	v_mul_lo_u32 v14, s27, v10
	v_mul_lo_u32 v13, v10, v4
	v_mul_hi_u32 v15, v10, v14
	v_mul_hi_u32 v5, v10, v4
	v_add_co_u32_e32 v13, vcc, v15, v13
	v_addc_co_u32_e32 v5, vcc, 0, v5, vcc
	v_mul_hi_u32 v16, v11, v14
	v_mul_lo_u32 v14, v11, v14
	v_add_co_u32_e32 v13, vcc, v13, v14
	v_mul_hi_u32 v15, v11, v4
	v_addc_co_u32_e32 v5, vcc, v5, v16, vcc
	v_addc_co_u32_e32 v13, vcc, 0, v15, vcc
	v_mul_lo_u32 v4, v11, v4
	v_add_co_u32_e32 v4, vcc, v5, v4
	v_addc_co_u32_e32 v5, vcc, 0, v13, vcc
	v_add_co_u32_e32 v4, vcc, v10, v4
	v_addc_co_u32_e32 v5, vcc, v11, v5, vcc
	v_mul_lo_u32 v13, s27, v5
	v_mul_hi_u32 v14, s27, v4
	v_add_u32_e32 v13, v14, v13
	v_mul_lo_u32 v14, s28, v4
	v_add_u32_e32 v13, v13, v14
	v_mul_lo_u32 v15, s27, v4
	v_mul_hi_u32 v16, v5, v15
	v_mul_lo_u32 v17, v5, v15
	v_mul_lo_u32 v19, v4, v13
	v_mul_hi_u32 v15, v4, v15
	v_mul_hi_u32 v18, v4, v13
	v_add_co_u32_e32 v15, vcc, v15, v19
	v_addc_co_u32_e32 v18, vcc, 0, v18, vcc
	v_add_co_u32_e32 v15, vcc, v15, v17
	v_mul_hi_u32 v14, v5, v13
	v_addc_co_u32_e32 v15, vcc, v18, v16, vcc
	v_addc_co_u32_e32 v14, vcc, 0, v14, vcc
	v_mul_lo_u32 v13, v5, v13
	v_add_co_u32_e32 v13, vcc, v15, v13
	v_addc_co_u32_e32 v14, vcc, 0, v14, vcc
	v_add_co_u32_e32 v4, vcc, v4, v13
	v_addc_co_u32_e32 v5, vcc, v5, v14, vcc
	v_ashrrev_i32_e32 v13, 31, v3
	v_add_co_u32_e32 v2, vcc, v2, v13
	v_addc_co_u32_e32 v3, vcc, v3, v13, vcc
	v_xor_b32_e32 v15, v2, v13
	v_xor_b32_e32 v14, v3, v13
	v_mad_u64_u32 v[2:3], s[28:29], v15, v5, 0
	v_mul_hi_u32 v16, v15, v4
	v_add_co_u32_e32 v16, vcc, v16, v2
	v_addc_co_u32_e32 v17, vcc, 0, v3, vcc
	v_mad_u64_u32 v[2:3], s[28:29], v14, v5, 0
	v_mad_u64_u32 v[4:5], s[28:29], v14, v4, 0
	v_add_co_u32_e32 v4, vcc, v16, v4
	v_addc_co_u32_e32 v4, vcc, v17, v5, vcc
	v_addc_co_u32_e32 v3, vcc, 0, v3, vcc
	v_add_co_u32_e32 v2, vcc, v4, v2
	v_addc_co_u32_e32 v5, vcc, 0, v3, vcc
	v_mad_u64_u32 v[2:3], s[28:29], s21, v2, 0
	v_mov_b32_e32 v4, v3
	v_mad_u64_u32 v[4:5], s[28:29], s21, v5, v[4:5]
	v_sub_co_u32_e32 v2, vcc, v15, v2
	v_subb_co_u32_e32 v3, vcc, v14, v4, vcc
	v_subrev_co_u32_e32 v4, vcc, s21, v2
	v_subbrev_co_u32_e32 v5, vcc, 0, v3, vcc
	v_subrev_co_u32_e32 v14, vcc, s21, v4
	v_cmp_le_u32_e32 vcc, s21, v4
	v_cndmask_b32_e64 v15, 0, -1, vcc
	v_cmp_eq_u32_e32 vcc, 0, v5
	v_cndmask_b32_e32 v5, -1, v15, vcc
	v_cmp_le_u32_e32 vcc, s21, v2
	v_cndmask_b32_e64 v15, 0, -1, vcc
	v_cmp_eq_u32_e32 vcc, 0, v3
	v_cndmask_b32_e32 v3, -1, v15, vcc
	v_cmp_ne_u32_e32 vcc, 0, v5
	v_cndmask_b32_e32 v4, v4, v14, vcc
	v_cmp_ne_u32_e32 vcc, 0, v3
	v_cndmask_b32_e32 v2, v2, v4, vcc
	v_xor_b32_e32 v2, v2, v13
	v_sub_co_u32_e32 v4, vcc, v2, v13
                                        ; implicit-def: $vgpr2_vgpr3
	s_andn2_saveexec_b64 s[0:1], s[0:1]
	s_cbranch_execz .LBB6_23
.LBB6_27:                               ;   in Loop: Header=BB6_18 Depth=1
	v_cvt_f32_u32_e32 v3, s21
	s_sub_i32 s27, 0, s21
	v_rcp_iflag_f32_e32 v3, v3
	v_mul_f32_e32 v3, 0x4f7ffffe, v3
	v_cvt_u32_f32_e32 v3, v3
	v_mul_lo_u32 v4, s27, v3
	v_mul_hi_u32 v4, v3, v4
	v_add_u32_e32 v3, v3, v4
	v_mul_hi_u32 v3, v2, v3
	v_mul_lo_u32 v3, v3, s21
	v_sub_u32_e32 v2, v2, v3
	v_subrev_u32_e32 v3, s21, v2
	v_cmp_le_u32_e32 vcc, s21, v2
	v_cndmask_b32_e32 v2, v2, v3, vcc
	v_subrev_u32_e32 v3, s21, v2
	v_cmp_le_u32_e32 vcc, s21, v2
	v_cndmask_b32_e32 v4, v2, v3, vcc
	s_or_b64 exec, exec, s[0:1]
	s_andn2_b64 vcc, exec, s[16:17]
	s_cbranch_vccz .LBB6_24
.LBB6_28:                               ;   in Loop: Header=BB6_18 Depth=1
	v_mov_b32_e32 v13, 1.0
	s_andn2_b64 vcc, exec, s[22:23]
	s_cbranch_vccz .LBB6_25
.LBB6_29:                               ;   in Loop: Header=BB6_18 Depth=1
	v_mov_b32_e32 v4, 0
.LBB6_30:                               ;   in Loop: Header=BB6_18 Depth=1
	v_lshlrev_b64 v[2:3], 1, v[0:1]
	v_mov_b32_e32 v0, s9
	v_add_co_u32_e32 v14, vcc, s8, v2
	v_addc_co_u32_e32 v15, vcc, v0, v3, vcc
	global_load_ushort v0, v[14:15], off
	s_waitcnt vmcnt(0)
	v_lshlrev_b32_e32 v0, 16, v0
	v_sub_f32_e32 v0, v0, v8
	v_mul_f32_e32 v0, v0, v9
	v_fmac_f32_e32 v4, v13, v0
	v_and_b32_e32 v0, 0x7f800000, v4
	v_cmp_ne_u32_e32 vcc, s33, v0
                                        ; implicit-def: $vgpr0
	s_and_saveexec_b64 s[0:1], vcc
	s_xor_b64 s[0:1], exec, s[0:1]
; %bb.31:                               ;   in Loop: Header=BB6_18 Depth=1
	v_bfe_u32 v0, v4, 16, 1
	v_add3_u32 v0, v4, v0, s34
                                        ; implicit-def: $vgpr4
; %bb.32:                               ;   in Loop: Header=BB6_18 Depth=1
	s_andn2_saveexec_b64 s[0:1], s[0:1]
	s_cbranch_execz .LBB6_17
; %bb.33:                               ;   in Loop: Header=BB6_18 Depth=1
	v_or_b32_e32 v0, 0x10000, v4
	v_cmp_eq_u32_sdwa vcc, v4, v1 src0_sel:WORD_0 src1_sel:DWORD
	v_cndmask_b32_e32 v0, v0, v4, vcc
	s_branch .LBB6_17
.LBB6_34:                               ;   in Loop: Header=BB6_18 Depth=1
                                        ; implicit-def: $vgpr2_vgpr3
	s_branch .LBB6_20
.LBB6_35:
	ds_read_b32 v2, v4
	s_or_b64 exec, exec, s[0:1]
	s_and_saveexec_b64 s[0:1], vcc
	s_cbranch_execz .LBB6_11
.LBB6_36:
	ds_read_b32 v3, v4 offset:4
	s_or_b64 exec, exec, s[0:1]
	v_cmp_gt_u32_e32 vcc, 64, v0
	s_and_saveexec_b64 s[0:1], vcc
	s_cbranch_execz .LBB6_12
.LBB6_37:
	s_waitcnt lgkmcnt(0)
	ds_bpermute_b32 v4, v6, v2
	ds_bpermute_b32 v5, v6, v3
	s_waitcnt lgkmcnt(0)
	v_pk_add_f32 v[2:3], v[2:3], v[4:5]
	ds_bpermute_b32 v6, v7, v2
	ds_bpermute_b32 v7, v7, v3
	s_waitcnt lgkmcnt(0)
	v_pk_add_f32 v[2:3], v[2:3], v[6:7]
	;; [unrolled: 4-line block ×6, first 2 shown]
	s_or_b64 exec, exec, s[0:1]
	v_cmp_eq_u32_e32 vcc, 0, v0
	s_and_saveexec_b64 s[0:1], vcc
	s_cbranch_execnz .LBB6_13
	s_branch .LBB6_14
.LBB6_38:
	s_or_b64 exec, exec, s[4:5]
	s_mov_b64 s[0:1], 0
.LBB6_39:
	s_andn2_b64 vcc, exec, s[0:1]
	s_cbranch_vccnz .LBB6_71
; %bb.40:
	v_lshlrev_b32_e32 v10, 2, v6
	v_cmp_gt_u32_e32 vcc, s20, v10
	s_and_saveexec_b64 s[0:1], vcc
	s_cbranch_execz .LBB6_71
; %bb.41:
	v_cvt_f32_u32_e32 v0, s2
	v_cvt_f32_u32_e32 v2, s21
	v_cvt_f32_ubyte0_e32 v3, 0
	s_cmp_lg_u64 s[10:11], 0
	v_rcp_iflag_f32_e32 v0, v0
	v_mac_f32_e32 v2, 0x4f800000, v3
	v_rcp_f32_e32 v2, v2
	s_mul_i32 s26, s7, s20
	v_mul_f32_e32 v0, 0x4f7ffffe, v0
	v_cvt_u32_f32_e32 v12, v0
	v_mul_f32_e32 v0, 0x5f7ffffc, v2
	v_mul_f32_e32 v2, 0x2f800000, v0
	v_trunc_f32_e32 v13, v2
	v_mac_f32_e32 v0, 0xcf800000, v13
	v_cvt_u32_f32_e32 v14, v0
	s_cselect_b64 s[6:7], -1, 0
	s_cmp_lg_u64 s[12:13], 0
	s_mov_b64 s[4:5], 0
	s_cselect_b64 s[14:15], -1, 0
	s_lshl_b32 s27, s30, 12
	v_mov_b32_e32 v11, 1.0
	v_mov_b32_e32 v1, 0
	s_mov_b32 s16, 0
	s_mov_b32 s17, s3
	s_ashr_i32 s22, s3, 31
	s_mov_b32 s28, 0x7f800000
	s_movk_i32 s29, 0x7fff
	s_mov_b32 s30, 0xffff0000
	v_mov_b32_e32 v15, 0
	s_branch .LBB6_43
.LBB6_42:                               ;   in Loop: Header=BB6_43 Depth=1
	s_or_b64 exec, exec, s[0:1]
	v_mov_b32_e32 v7, s19
	v_add_co_u32_e32 v2, vcc, s18, v2
	v_addc_co_u32_e32 v3, vcc, v7, v3, vcc
	v_add_u32_e32 v10, s27, v10
	v_lshrrev_b32_e32 v0, 16, v0
	v_and_b32_e32 v5, 0xffff0000, v5
	v_cmp_le_u32_e32 vcc, s20, v10
	v_or_b32_sdwa v5, v5, v4 dst_sel:DWORD dst_unused:UNUSED_PAD src0_sel:DWORD src1_sel:WORD_1
	v_and_or_b32 v4, v6, s30, v0
	s_or_b64 s[4:5], vcc, s[4:5]
	global_store_dwordx2 v[2:3], v[4:5], off
	s_andn2_b64 exec, exec, s[4:5]
	s_cbranch_execz .LBB6_71
.LBB6_43:                               ; =>This Inner Loop Header: Depth=1
	s_cmp_lg_u64 s[16:17], 0
	v_add_u32_e32 v0, s26, v10
	s_cbranch_scc0 .LBB6_70
; %bb.44:                               ;   in Loop: Header=BB6_43 Depth=1
	s_add_u32 s0, s2, s22
	s_mov_b32 s23, s22
	s_addc_u32 s1, s3, s22
	s_xor_b64 s[24:25], s[0:1], s[22:23]
	v_cvt_f32_u32_e32 v2, s24
	v_cvt_f32_u32_e32 v3, s25
	s_sub_u32 s0, 0, s24
	s_subb_u32 s1, 0, s25
	v_mac_f32_e32 v2, 0x4f800000, v3
	v_rcp_f32_e32 v2, v2
	v_mul_f32_e32 v2, 0x5f7ffffc, v2
	v_mul_f32_e32 v3, 0x2f800000, v2
	v_trunc_f32_e32 v3, v3
	v_mac_f32_e32 v2, 0xcf800000, v3
	v_cvt_u32_f32_e32 v3, v3
	v_cvt_u32_f32_e32 v2, v2
	v_mul_lo_u32 v4, s0, v3
	v_mul_hi_u32 v6, s0, v2
	v_mul_lo_u32 v5, s1, v2
	v_add_u32_e32 v4, v6, v4
	v_mul_lo_u32 v7, s0, v2
	v_add_u32_e32 v4, v4, v5
	v_mul_lo_u32 v6, v2, v4
	v_mul_hi_u32 v16, v2, v7
	v_mul_hi_u32 v5, v2, v4
	v_add_co_u32_e32 v6, vcc, v16, v6
	v_addc_co_u32_e32 v5, vcc, 0, v5, vcc
	v_mul_hi_u32 v17, v3, v7
	v_mul_lo_u32 v7, v3, v7
	v_add_co_u32_e32 v6, vcc, v6, v7
	v_mul_hi_u32 v16, v3, v4
	v_addc_co_u32_e32 v5, vcc, v5, v17, vcc
	v_addc_co_u32_e32 v6, vcc, 0, v16, vcc
	v_mul_lo_u32 v4, v3, v4
	v_add_co_u32_e32 v4, vcc, v5, v4
	v_addc_co_u32_e32 v5, vcc, 0, v6, vcc
	v_add_co_u32_e32 v2, vcc, v2, v4
	v_addc_co_u32_e32 v3, vcc, v3, v5, vcc
	v_mul_lo_u32 v4, s0, v3
	v_mul_hi_u32 v5, s0, v2
	v_add_u32_e32 v4, v5, v4
	v_mul_lo_u32 v5, s1, v2
	v_add_u32_e32 v4, v4, v5
	v_mul_lo_u32 v6, s0, v2
	v_mul_hi_u32 v7, v3, v6
	v_mul_lo_u32 v16, v3, v6
	v_mul_lo_u32 v18, v2, v4
	v_mul_hi_u32 v6, v2, v6
	v_mul_hi_u32 v17, v2, v4
	v_add_co_u32_e32 v6, vcc, v6, v18
	v_addc_co_u32_e32 v17, vcc, 0, v17, vcc
	v_add_co_u32_e32 v6, vcc, v6, v16
	v_mul_hi_u32 v5, v3, v4
	v_addc_co_u32_e32 v6, vcc, v17, v7, vcc
	v_addc_co_u32_e32 v5, vcc, 0, v5, vcc
	v_mul_lo_u32 v4, v3, v4
	v_add_co_u32_e32 v4, vcc, v6, v4
	v_addc_co_u32_e32 v5, vcc, 0, v5, vcc
	v_add_co_u32_e32 v4, vcc, v2, v4
	v_addc_co_u32_e32 v5, vcc, v3, v5, vcc
	v_mad_u64_u32 v[2:3], s[0:1], v0, v5, 0
	v_mul_hi_u32 v6, v0, v4
	v_add_co_u32_e32 v6, vcc, v6, v2
	v_addc_co_u32_e32 v7, vcc, 0, v3, vcc
	v_mad_u64_u32 v[2:3], s[0:1], 0, v5, 0
	v_mad_u64_u32 v[4:5], s[0:1], 0, v4, 0
	v_add_co_u32_e32 v4, vcc, v6, v4
	v_addc_co_u32_e32 v4, vcc, v7, v5, vcc
	v_addc_co_u32_e32 v3, vcc, 0, v3, vcc
	v_add_co_u32_e32 v4, vcc, v4, v2
	v_addc_co_u32_e32 v5, vcc, 0, v3, vcc
	v_mul_lo_u32 v6, s25, v4
	v_mul_lo_u32 v7, s24, v5
	v_mad_u64_u32 v[2:3], s[0:1], s24, v4, 0
	v_add3_u32 v3, v3, v7, v6
	v_sub_u32_e32 v6, 0, v3
	v_mov_b32_e32 v7, s25
	v_sub_co_u32_e32 v2, vcc, v0, v2
	v_subb_co_u32_e64 v6, s[0:1], v6, v7, vcc
	v_subrev_co_u32_e64 v7, s[0:1], s24, v2
	v_subbrev_co_u32_e64 v6, s[0:1], 0, v6, s[0:1]
	v_cmp_le_u32_e64 s[0:1], s25, v6
	v_cndmask_b32_e64 v16, 0, -1, s[0:1]
	v_cmp_le_u32_e64 s[0:1], s24, v7
	v_cndmask_b32_e64 v7, 0, -1, s[0:1]
	v_cmp_eq_u32_e64 s[0:1], s25, v6
	v_cndmask_b32_e64 v6, v16, v7, s[0:1]
	v_add_co_u32_e64 v7, s[0:1], 2, v4
	v_addc_co_u32_e64 v16, s[0:1], 0, v5, s[0:1]
	v_add_co_u32_e64 v17, s[0:1], 1, v4
	v_addc_co_u32_e64 v18, s[0:1], 0, v5, s[0:1]
	v_subb_co_u32_e32 v3, vcc, 0, v3, vcc
	v_cmp_ne_u32_e64 s[0:1], 0, v6
	v_cmp_le_u32_e32 vcc, s25, v3
	v_cndmask_b32_e64 v6, v18, v16, s[0:1]
	v_cndmask_b32_e64 v16, 0, -1, vcc
	v_cmp_le_u32_e32 vcc, s24, v2
	v_cndmask_b32_e64 v2, 0, -1, vcc
	v_cmp_eq_u32_e32 vcc, s25, v3
	v_cndmask_b32_e32 v2, v16, v2, vcc
	v_cmp_ne_u32_e32 vcc, 0, v2
	v_cndmask_b32_e64 v3, v17, v7, s[0:1]
	v_cndmask_b32_e32 v2, v5, v6, vcc
	v_cndmask_b32_e32 v3, v4, v3, vcc
	v_xor_b32_e32 v4, s22, v2
	v_xor_b32_e32 v2, s22, v3
	v_mov_b32_e32 v3, s22
	v_subrev_co_u32_e32 v2, vcc, s22, v2
	v_subb_co_u32_e32 v3, vcc, v4, v3, vcc
	s_cbranch_execnz .LBB6_46
.LBB6_45:                               ;   in Loop: Header=BB6_43 Depth=1
	s_sub_i32 s0, 0, s2
	v_mul_lo_u32 v2, s0, v12
	v_mul_hi_u32 v2, v12, v2
	v_add_u32_e32 v2, v12, v2
	v_mul_hi_u32 v2, v0, v2
	v_mul_lo_u32 v3, v2, s2
	v_sub_u32_e32 v3, v0, v3
	v_subrev_u32_e32 v4, s2, v3
	v_cmp_le_u32_e32 vcc, s2, v3
	v_cndmask_b32_e32 v3, v3, v4, vcc
	v_add_u32_e32 v4, 1, v2
	v_cndmask_b32_e32 v2, v2, v4, vcc
	v_add_u32_e32 v4, 1, v2
	v_cmp_le_u32_e32 vcc, s2, v3
	v_cndmask_b32_e32 v2, v2, v4, vcc
	v_mov_b32_e32 v3, v1
.LBB6_46:                               ;   in Loop: Header=BB6_43 Depth=1
	v_mov_b32_e32 v4, v1
	v_mov_b32_e32 v5, v3
	v_cmp_ne_u64_e32 vcc, 0, v[4:5]
                                        ; implicit-def: $vgpr6_vgpr7
	s_and_saveexec_b64 s[0:1], vcc
	s_xor_b64 s[0:1], exec, s[0:1]
	s_cbranch_execz .LBB6_48
; %bb.47:                               ;   in Loop: Header=BB6_43 Depth=1
	v_cvt_u32_f32_e32 v4, v13
	s_sub_u32 s23, 0, s21
	s_subb_u32 s24, 0, 0
	v_mul_hi_u32 v6, s23, v14
	v_mul_lo_u32 v7, s23, v4
	v_mul_lo_u32 v5, s24, v14
	v_add_u32_e32 v6, v6, v7
	v_add_u32_e32 v5, v6, v5
	v_mul_lo_u32 v16, s23, v14
	v_mul_lo_u32 v7, v14, v5
	v_mul_hi_u32 v17, v14, v16
	v_mul_hi_u32 v6, v14, v5
	v_add_co_u32_e32 v7, vcc, v17, v7
	v_addc_co_u32_e32 v6, vcc, 0, v6, vcc
	v_mul_hi_u32 v18, v4, v16
	v_mul_lo_u32 v16, v4, v16
	v_add_co_u32_e32 v7, vcc, v7, v16
	v_mul_hi_u32 v17, v4, v5
	v_addc_co_u32_e32 v6, vcc, v6, v18, vcc
	v_addc_co_u32_e32 v7, vcc, 0, v17, vcc
	v_mul_lo_u32 v5, v4, v5
	v_add_co_u32_e32 v5, vcc, v6, v5
	v_addc_co_u32_e32 v6, vcc, 0, v7, vcc
	v_add_co_u32_e32 v5, vcc, v14, v5
	v_addc_co_u32_e32 v4, vcc, v4, v6, vcc
	v_mul_lo_u32 v6, s23, v4
	v_mul_hi_u32 v7, s23, v5
	v_add_u32_e32 v6, v7, v6
	v_mul_lo_u32 v7, s24, v5
	v_add_u32_e32 v6, v6, v7
	v_mul_lo_u32 v16, s23, v5
	v_mul_hi_u32 v17, v4, v16
	v_mul_lo_u32 v18, v4, v16
	v_mul_lo_u32 v20, v5, v6
	v_mul_hi_u32 v16, v5, v16
	v_mul_hi_u32 v19, v5, v6
	v_add_co_u32_e32 v16, vcc, v16, v20
	v_addc_co_u32_e32 v19, vcc, 0, v19, vcc
	v_add_co_u32_e32 v16, vcc, v16, v18
	v_mul_hi_u32 v7, v4, v6
	v_addc_co_u32_e32 v16, vcc, v19, v17, vcc
	v_addc_co_u32_e32 v7, vcc, 0, v7, vcc
	v_mul_lo_u32 v6, v4, v6
	v_add_co_u32_e32 v6, vcc, v16, v6
	v_addc_co_u32_e32 v7, vcc, 0, v7, vcc
	v_add_co_u32_e32 v5, vcc, v5, v6
	v_addc_co_u32_e32 v4, vcc, v4, v7, vcc
	v_ashrrev_i32_e32 v6, 31, v3
	v_add_co_u32_e32 v2, vcc, v2, v6
	v_addc_co_u32_e32 v3, vcc, v3, v6, vcc
	v_xor_b32_e32 v16, v2, v6
	v_xor_b32_e32 v7, v3, v6
	v_mad_u64_u32 v[2:3], s[24:25], v16, v4, 0
	v_mul_hi_u32 v17, v16, v5
	v_add_co_u32_e32 v17, vcc, v17, v2
	v_addc_co_u32_e32 v18, vcc, 0, v3, vcc
	v_mad_u64_u32 v[2:3], s[24:25], v7, v4, 0
	v_mad_u64_u32 v[4:5], s[24:25], v7, v5, 0
	v_add_co_u32_e32 v4, vcc, v17, v4
	v_addc_co_u32_e32 v4, vcc, v18, v5, vcc
	v_addc_co_u32_e32 v3, vcc, 0, v3, vcc
	v_add_co_u32_e32 v2, vcc, v4, v2
	v_addc_co_u32_e32 v5, vcc, 0, v3, vcc
	v_mad_u64_u32 v[2:3], s[24:25], s21, v2, 0
	v_mov_b32_e32 v4, v3
	v_mad_u64_u32 v[4:5], s[24:25], s21, v5, v[4:5]
	v_sub_co_u32_e32 v2, vcc, v16, v2
	v_subb_co_u32_e32 v3, vcc, v7, v4, vcc
	v_subrev_co_u32_e32 v4, vcc, s21, v2
	v_subbrev_co_u32_e32 v5, vcc, 0, v3, vcc
	v_subrev_co_u32_e32 v7, vcc, s21, v4
	v_cmp_le_u32_e32 vcc, s21, v4
	v_cndmask_b32_e64 v16, 0, -1, vcc
	v_cmp_eq_u32_e32 vcc, 0, v5
	v_cndmask_b32_e32 v5, -1, v16, vcc
	v_cmp_le_u32_e32 vcc, s21, v2
	v_cndmask_b32_e64 v16, 0, -1, vcc
	v_cmp_eq_u32_e32 vcc, 0, v3
	v_cndmask_b32_e32 v3, -1, v16, vcc
	v_cmp_ne_u32_e32 vcc, 0, v5
	v_cndmask_b32_e32 v4, v4, v7, vcc
	v_cmp_ne_u32_e32 vcc, 0, v3
	v_cndmask_b32_e32 v2, v2, v4, vcc
	v_xor_b32_e32 v2, v2, v6
	v_sub_co_u32_e32 v6, vcc, v2, v6
                                        ; implicit-def: $vgpr2_vgpr3
.LBB6_48:                               ;   in Loop: Header=BB6_43 Depth=1
	s_andn2_saveexec_b64 s[0:1], s[0:1]
	s_cbranch_execz .LBB6_50
; %bb.49:                               ;   in Loop: Header=BB6_43 Depth=1
	v_cvt_f32_u32_e32 v3, s21
	s_sub_i32 s23, 0, s21
	v_rcp_iflag_f32_e32 v3, v3
	v_mul_f32_e32 v3, 0x4f7ffffe, v3
	v_cvt_u32_f32_e32 v3, v3
	v_mul_lo_u32 v4, s23, v3
	v_mul_hi_u32 v4, v3, v4
	v_add_u32_e32 v3, v3, v4
	v_mul_hi_u32 v3, v2, v3
	v_mul_lo_u32 v3, v3, s21
	v_sub_u32_e32 v2, v2, v3
	v_subrev_u32_e32 v3, s21, v2
	v_cmp_le_u32_e32 vcc, s21, v2
	v_cndmask_b32_e32 v2, v2, v3, vcc
	v_subrev_u32_e32 v3, s21, v2
	v_cmp_le_u32_e32 vcc, s21, v2
	v_cndmask_b32_e32 v6, v2, v3, vcc
.LBB6_50:                               ;   in Loop: Header=BB6_43 Depth=1
	s_or_b64 exec, exec, s[0:1]
	v_lshlrev_b64 v[2:3], 1, v[0:1]
	v_mov_b32_e32 v0, s9
	v_add_co_u32_e32 v4, vcc, s8, v2
	v_addc_co_u32_e32 v5, vcc, v0, v3, vcc
	global_load_dwordx2 v[4:5], v[4:5], off
	s_andn2_b64 vcc, exec, s[6:7]
	s_cbranch_vccnz .LBB6_52
; %bb.51:                               ;   in Loop: Header=BB6_43 Depth=1
	v_mov_b32_e32 v7, v1
	v_lshlrev_b64 v[16:17], 1, v[6:7]
	v_mov_b32_e32 v0, s11
	v_add_co_u32_e32 v16, vcc, s10, v16
	v_addc_co_u32_e32 v17, vcc, v0, v17, vcc
	global_load_ushort v0, v[16:17], off
	s_waitcnt vmcnt(0)
	v_lshlrev_b32_e32 v11, 16, v0
.LBB6_52:                               ;   in Loop: Header=BB6_43 Depth=1
	s_andn2_b64 vcc, exec, s[14:15]
	s_cbranch_vccnz .LBB6_54
; %bb.53:                               ;   in Loop: Header=BB6_43 Depth=1
	v_mov_b32_e32 v7, v1
	v_lshlrev_b64 v[6:7], 1, v[6:7]
	v_mov_b32_e32 v0, s13
	v_add_co_u32_e32 v6, vcc, s12, v6
	v_addc_co_u32_e32 v7, vcc, v0, v7, vcc
	global_load_ushort v0, v[6:7], off
	s_waitcnt vmcnt(0)
	v_lshlrev_b32_e32 v15, 16, v0
.LBB6_54:                               ;   in Loop: Header=BB6_43 Depth=1
	s_waitcnt vmcnt(0)
	v_lshlrev_b32_e32 v0, 16, v4
	v_sub_f32_e32 v0, v0, v8
	v_mul_f32_e32 v0, v0, v9
	v_fma_f32 v6, v0, v11, v15
	v_and_b32_e32 v0, 0x7f800000, v6
	v_cmp_ne_u32_e32 vcc, s28, v0
                                        ; implicit-def: $vgpr0
	s_and_saveexec_b64 s[0:1], vcc
	s_xor_b64 s[0:1], exec, s[0:1]
; %bb.55:                               ;   in Loop: Header=BB6_43 Depth=1
	v_bfe_u32 v0, v6, 16, 1
	v_add3_u32 v0, v6, v0, s29
                                        ; implicit-def: $vgpr6
; %bb.56:                               ;   in Loop: Header=BB6_43 Depth=1
	s_andn2_saveexec_b64 s[0:1], s[0:1]
; %bb.57:                               ;   in Loop: Header=BB6_43 Depth=1
	v_or_b32_e32 v0, 0x10000, v6
	v_cmp_eq_u32_sdwa vcc, v6, v1 src0_sel:WORD_0 src1_sel:DWORD
	v_cndmask_b32_e32 v0, v0, v6, vcc
; %bb.58:                               ;   in Loop: Header=BB6_43 Depth=1
	s_or_b64 exec, exec, s[0:1]
	v_and_b32_e32 v6, 0xffff0000, v4
	v_sub_f32_e32 v6, v6, v8
	v_mul_f32_e32 v6, v6, v9
	v_fma_f32 v7, v6, v11, v15
	v_and_b32_e32 v6, 0x7f800000, v7
	v_cmp_ne_u32_e32 vcc, s28, v6
                                        ; implicit-def: $vgpr6
	s_and_saveexec_b64 s[0:1], vcc
	s_xor_b64 s[0:1], exec, s[0:1]
; %bb.59:                               ;   in Loop: Header=BB6_43 Depth=1
	v_bfe_u32 v6, v7, 16, 1
	v_add3_u32 v6, v7, v6, s29
                                        ; implicit-def: $vgpr7
; %bb.60:                               ;   in Loop: Header=BB6_43 Depth=1
	s_andn2_saveexec_b64 s[0:1], s[0:1]
; %bb.61:                               ;   in Loop: Header=BB6_43 Depth=1
	v_or_b32_e32 v6, 0x10000, v7
	v_cmp_eq_u32_sdwa vcc, v7, v1 src0_sel:WORD_0 src1_sel:DWORD
	v_cndmask_b32_e32 v6, v6, v7, vcc
; %bb.62:                               ;   in Loop: Header=BB6_43 Depth=1
	s_or_b64 exec, exec, s[0:1]
	v_alignbit_b32 v4, v5, v4, 16
	v_and_b32_e32 v4, 0xffff0000, v4
	v_sub_f32_e32 v4, v4, v8
	v_mul_f32_e32 v4, v4, v9
	v_fma_f32 v7, v4, v11, v15
	v_and_b32_e32 v4, 0x7f800000, v7
	v_cmp_ne_u32_e32 vcc, s28, v4
                                        ; implicit-def: $vgpr4
	s_and_saveexec_b64 s[0:1], vcc
	s_xor_b64 s[0:1], exec, s[0:1]
; %bb.63:                               ;   in Loop: Header=BB6_43 Depth=1
	v_bfe_u32 v4, v7, 16, 1
	v_add3_u32 v4, v7, v4, s29
                                        ; implicit-def: $vgpr7
; %bb.64:                               ;   in Loop: Header=BB6_43 Depth=1
	s_andn2_saveexec_b64 s[0:1], s[0:1]
; %bb.65:                               ;   in Loop: Header=BB6_43 Depth=1
	v_or_b32_e32 v4, 0x10000, v7
	v_cmp_eq_u32_sdwa vcc, v7, v1 src0_sel:WORD_0 src1_sel:DWORD
	v_cndmask_b32_e32 v4, v4, v7, vcc
; %bb.66:                               ;   in Loop: Header=BB6_43 Depth=1
	s_or_b64 exec, exec, s[0:1]
	v_and_b32_e32 v5, 0xffff0000, v5
	v_sub_f32_e32 v5, v5, v8
	v_mul_f32_e32 v5, v5, v9
	v_fma_f32 v7, v5, v11, v15
	v_and_b32_e32 v5, 0x7f800000, v7
	v_cmp_ne_u32_e32 vcc, s28, v5
                                        ; implicit-def: $vgpr5
	s_and_saveexec_b64 s[0:1], vcc
	s_xor_b64 s[0:1], exec, s[0:1]
; %bb.67:                               ;   in Loop: Header=BB6_43 Depth=1
	v_bfe_u32 v5, v7, 16, 1
	v_add3_u32 v5, v7, v5, s29
                                        ; implicit-def: $vgpr7
; %bb.68:                               ;   in Loop: Header=BB6_43 Depth=1
	s_andn2_saveexec_b64 s[0:1], s[0:1]
	s_cbranch_execz .LBB6_42
; %bb.69:                               ;   in Loop: Header=BB6_43 Depth=1
	v_or_b32_e32 v5, 0x10000, v7
	v_cmp_eq_u32_sdwa vcc, v7, v1 src0_sel:WORD_0 src1_sel:DWORD
	v_cndmask_b32_e32 v5, v5, v7, vcc
	s_branch .LBB6_42
.LBB6_70:                               ;   in Loop: Header=BB6_43 Depth=1
                                        ; implicit-def: $vgpr2_vgpr3
	s_branch .LBB6_45
.LBB6_71:
	s_endpgm
.LBB6_72:
                                        ; implicit-def: $sgpr20_sgpr21
	s_branch .LBB6_2
	.section	.rodata,"a",@progbits
	.p2align	6, 0x0
	.amdhsa_kernel _ZN12_GLOBAL__N_130groupnorm_kernel_dispatch_downI14__hip_bfloat16Lj1024EEEvjjlfbPKT_S4_S4_PKfS6_PS2_
		.amdhsa_group_segment_fixed_size 128
		.amdhsa_private_segment_fixed_size 0
		.amdhsa_kernarg_size 328
		.amdhsa_user_sgpr_count 6
		.amdhsa_user_sgpr_private_segment_buffer 1
		.amdhsa_user_sgpr_dispatch_ptr 0
		.amdhsa_user_sgpr_queue_ptr 0
		.amdhsa_user_sgpr_kernarg_segment_ptr 1
		.amdhsa_user_sgpr_dispatch_id 0
		.amdhsa_user_sgpr_flat_scratch_init 0
		.amdhsa_user_sgpr_kernarg_preload_length 0
		.amdhsa_user_sgpr_kernarg_preload_offset 0
		.amdhsa_user_sgpr_private_segment_size 0
		.amdhsa_uses_dynamic_stack 0
		.amdhsa_system_sgpr_private_segment_wavefront_offset 0
		.amdhsa_system_sgpr_workgroup_id_x 1
		.amdhsa_system_sgpr_workgroup_id_y 1
		.amdhsa_system_sgpr_workgroup_id_z 0
		.amdhsa_system_sgpr_workgroup_info 0
		.amdhsa_system_vgpr_workitem_id 0
		.amdhsa_next_free_vgpr 21
		.amdhsa_next_free_sgpr 35
		.amdhsa_accum_offset 24
		.amdhsa_reserve_vcc 1
		.amdhsa_reserve_flat_scratch 0
		.amdhsa_float_round_mode_32 0
		.amdhsa_float_round_mode_16_64 0
		.amdhsa_float_denorm_mode_32 3
		.amdhsa_float_denorm_mode_16_64 3
		.amdhsa_dx10_clamp 1
		.amdhsa_ieee_mode 1
		.amdhsa_fp16_overflow 0
		.amdhsa_tg_split 0
		.amdhsa_exception_fp_ieee_invalid_op 0
		.amdhsa_exception_fp_denorm_src 0
		.amdhsa_exception_fp_ieee_div_zero 0
		.amdhsa_exception_fp_ieee_overflow 0
		.amdhsa_exception_fp_ieee_underflow 0
		.amdhsa_exception_fp_ieee_inexact 0
		.amdhsa_exception_int_div_zero 0
	.end_amdhsa_kernel
	.section	.text._ZN12_GLOBAL__N_130groupnorm_kernel_dispatch_downI14__hip_bfloat16Lj1024EEEvjjlfbPKT_S4_S4_PKfS6_PS2_,"axG",@progbits,_ZN12_GLOBAL__N_130groupnorm_kernel_dispatch_downI14__hip_bfloat16Lj1024EEEvjjlfbPKT_S4_S4_PKfS6_PS2_,comdat
.Lfunc_end6:
	.size	_ZN12_GLOBAL__N_130groupnorm_kernel_dispatch_downI14__hip_bfloat16Lj1024EEEvjjlfbPKT_S4_S4_PKfS6_PS2_, .Lfunc_end6-_ZN12_GLOBAL__N_130groupnorm_kernel_dispatch_downI14__hip_bfloat16Lj1024EEEvjjlfbPKT_S4_S4_PKfS6_PS2_
                                        ; -- End function
	.section	.AMDGPU.csdata,"",@progbits
; Kernel info:
; codeLenInByte = 5680
; NumSgprs: 39
; NumVgprs: 21
; NumAgprs: 0
; TotalNumVgprs: 21
; ScratchSize: 0
; MemoryBound: 0
; FloatMode: 240
; IeeeMode: 1
; LDSByteSize: 128 bytes/workgroup (compile time only)
; SGPRBlocks: 4
; VGPRBlocks: 2
; NumSGPRsForWavesPerEU: 39
; NumVGPRsForWavesPerEU: 21
; AccumOffset: 24
; Occupancy: 8
; WaveLimiterHint : 0
; COMPUTE_PGM_RSRC2:SCRATCH_EN: 0
; COMPUTE_PGM_RSRC2:USER_SGPR: 6
; COMPUTE_PGM_RSRC2:TRAP_HANDLER: 0
; COMPUTE_PGM_RSRC2:TGID_X_EN: 1
; COMPUTE_PGM_RSRC2:TGID_Y_EN: 1
; COMPUTE_PGM_RSRC2:TGID_Z_EN: 0
; COMPUTE_PGM_RSRC2:TIDIG_COMP_CNT: 0
; COMPUTE_PGM_RSRC3_GFX90A:ACCUM_OFFSET: 5
; COMPUTE_PGM_RSRC3_GFX90A:TG_SPLIT: 0
	.text
	.p2alignl 6, 3212836864
	.fill 256, 4, 3212836864
	.type	__hip_cuid_88b2df8909bf1a1e,@object ; @__hip_cuid_88b2df8909bf1a1e
	.section	.bss,"aw",@nobits
	.globl	__hip_cuid_88b2df8909bf1a1e
__hip_cuid_88b2df8909bf1a1e:
	.byte	0                               ; 0x0
	.size	__hip_cuid_88b2df8909bf1a1e, 1

	.ident	"AMD clang version 19.0.0git (https://github.com/RadeonOpenCompute/llvm-project roc-6.4.0 25133 c7fe45cf4b819c5991fe208aaa96edf142730f1d)"
	.section	".note.GNU-stack","",@progbits
	.addrsig
	.addrsig_sym __hip_cuid_88b2df8909bf1a1e
	.amdgpu_metadata
---
amdhsa.kernels:
  - .agpr_count:     0
    .args:           []
    .group_segment_fixed_size: 0
    .kernarg_segment_align: 4
    .kernarg_segment_size: 0
    .language:       OpenCL C
    .language_version:
      - 2
      - 0
    .max_flat_workgroup_size: 1024
    .name:           _ZN7ck_tileL11flush_cacheEv
    .private_segment_fixed_size: 0
    .sgpr_count:     4
    .sgpr_spill_count: 0
    .symbol:         _ZN7ck_tileL11flush_cacheEv.kd
    .uniform_work_group_size: 1
    .uses_dynamic_stack: false
    .vgpr_count:     0
    .vgpr_spill_count: 0
    .wavefront_size: 64
  - .agpr_count:     0
    .args:
      - .offset:         0
        .size:           4
        .value_kind:     by_value
      - .offset:         4
        .size:           4
        .value_kind:     by_value
      - .offset:         8
        .size:           8
        .value_kind:     by_value
      - .offset:         16
        .size:           1
        .value_kind:     by_value
      - .address_space:  global
        .offset:         24
        .size:           8
        .value_kind:     global_buffer
      - .address_space:  global
        .offset:         32
        .size:           8
        .value_kind:     global_buffer
      - .address_space:  global
        .offset:         40
        .size:           8
        .value_kind:     global_buffer
      - .offset:         48
        .size:           4
        .value_kind:     hidden_block_count_x
      - .offset:         52
        .size:           4
        .value_kind:     hidden_block_count_y
      - .offset:         56
        .size:           4
        .value_kind:     hidden_block_count_z
      - .offset:         60
        .size:           2
        .value_kind:     hidden_group_size_x
      - .offset:         62
        .size:           2
        .value_kind:     hidden_group_size_y
      - .offset:         64
        .size:           2
        .value_kind:     hidden_group_size_z
      - .offset:         66
        .size:           2
        .value_kind:     hidden_remainder_x
      - .offset:         68
        .size:           2
        .value_kind:     hidden_remainder_y
      - .offset:         70
        .size:           2
        .value_kind:     hidden_remainder_z
      - .offset:         88
        .size:           8
        .value_kind:     hidden_global_offset_x
      - .offset:         96
        .size:           8
        .value_kind:     hidden_global_offset_y
      - .offset:         104
        .size:           8
        .value_kind:     hidden_global_offset_z
      - .offset:         112
        .size:           2
        .value_kind:     hidden_grid_dims
    .group_segment_fixed_size: 128
    .kernarg_segment_align: 8
    .kernarg_segment_size: 304
    .language:       OpenCL C
    .language_version:
      - 2
      - 0
    .max_flat_workgroup_size: 1024
    .name:           _ZN12_GLOBAL__N_128groupnorm_kernel_dispatch_upIfLj1024EEEvjjlbPKT_PfS4_
    .private_segment_fixed_size: 0
    .sgpr_count:     27
    .sgpr_spill_count: 0
    .symbol:         _ZN12_GLOBAL__N_128groupnorm_kernel_dispatch_upIfLj1024EEEvjjlbPKT_PfS4_.kd
    .uniform_work_group_size: 1
    .uses_dynamic_stack: false
    .vgpr_count:     16
    .vgpr_spill_count: 0
    .wavefront_size: 64
  - .agpr_count:     0
    .args:
      - .offset:         0
        .size:           4
        .value_kind:     by_value
      - .offset:         4
        .size:           4
        .value_kind:     by_value
      - .offset:         8
        .size:           8
        .value_kind:     by_value
      - .offset:         16
        .size:           4
        .value_kind:     by_value
      - .offset:         20
        .size:           1
        .value_kind:     by_value
      - .address_space:  global
        .offset:         24
        .size:           8
        .value_kind:     global_buffer
      - .address_space:  global
        .offset:         32
        .size:           8
        .value_kind:     global_buffer
      - .address_space:  global
        .offset:         40
        .size:           8
        .value_kind:     global_buffer
      - .address_space:  global
        .offset:         48
        .size:           8
        .value_kind:     global_buffer
      - .address_space:  global
        .offset:         56
        .size:           8
        .value_kind:     global_buffer
      - .address_space:  global
        .offset:         64
        .size:           8
        .value_kind:     global_buffer
      - .offset:         72
        .size:           4
        .value_kind:     hidden_block_count_x
      - .offset:         76
        .size:           4
        .value_kind:     hidden_block_count_y
      - .offset:         80
        .size:           4
        .value_kind:     hidden_block_count_z
      - .offset:         84
        .size:           2
        .value_kind:     hidden_group_size_x
      - .offset:         86
        .size:           2
        .value_kind:     hidden_group_size_y
      - .offset:         88
        .size:           2
        .value_kind:     hidden_group_size_z
      - .offset:         90
        .size:           2
        .value_kind:     hidden_remainder_x
      - .offset:         92
        .size:           2
        .value_kind:     hidden_remainder_y
      - .offset:         94
        .size:           2
        .value_kind:     hidden_remainder_z
      - .offset:         112
        .size:           8
        .value_kind:     hidden_global_offset_x
      - .offset:         120
        .size:           8
        .value_kind:     hidden_global_offset_y
      - .offset:         128
        .size:           8
        .value_kind:     hidden_global_offset_z
      - .offset:         136
        .size:           2
        .value_kind:     hidden_grid_dims
    .group_segment_fixed_size: 128
    .kernarg_segment_align: 8
    .kernarg_segment_size: 328
    .language:       OpenCL C
    .language_version:
      - 2
      - 0
    .max_flat_workgroup_size: 1024
    .name:           _ZN12_GLOBAL__N_130groupnorm_kernel_dispatch_downIfLj1024EEEvjjlfbPKT_S3_S3_PKfS5_PS1_
    .private_segment_fixed_size: 0
    .sgpr_count:     36
    .sgpr_spill_count: 0
    .symbol:         _ZN12_GLOBAL__N_130groupnorm_kernel_dispatch_downIfLj1024EEEvjjlfbPKT_S3_S3_PKfS5_PS1_.kd
    .uniform_work_group_size: 1
    .uses_dynamic_stack: false
    .vgpr_count:     22
    .vgpr_spill_count: 0
    .wavefront_size: 64
  - .agpr_count:     0
    .args:
      - .offset:         0
        .size:           4
        .value_kind:     by_value
      - .offset:         4
        .size:           4
        .value_kind:     by_value
      - .offset:         8
        .size:           8
        .value_kind:     by_value
      - .offset:         16
        .size:           1
        .value_kind:     by_value
      - .address_space:  global
        .offset:         24
        .size:           8
        .value_kind:     global_buffer
      - .address_space:  global
        .offset:         32
        .size:           8
        .value_kind:     global_buffer
      - .address_space:  global
        .offset:         40
        .size:           8
        .value_kind:     global_buffer
      - .offset:         48
        .size:           4
        .value_kind:     hidden_block_count_x
      - .offset:         52
        .size:           4
        .value_kind:     hidden_block_count_y
      - .offset:         56
        .size:           4
        .value_kind:     hidden_block_count_z
      - .offset:         60
        .size:           2
        .value_kind:     hidden_group_size_x
      - .offset:         62
        .size:           2
        .value_kind:     hidden_group_size_y
      - .offset:         64
        .size:           2
        .value_kind:     hidden_group_size_z
      - .offset:         66
        .size:           2
        .value_kind:     hidden_remainder_x
      - .offset:         68
        .size:           2
        .value_kind:     hidden_remainder_y
      - .offset:         70
        .size:           2
        .value_kind:     hidden_remainder_z
      - .offset:         88
        .size:           8
        .value_kind:     hidden_global_offset_x
      - .offset:         96
        .size:           8
        .value_kind:     hidden_global_offset_y
      - .offset:         104
        .size:           8
        .value_kind:     hidden_global_offset_z
      - .offset:         112
        .size:           2
        .value_kind:     hidden_grid_dims
    .group_segment_fixed_size: 128
    .kernarg_segment_align: 8
    .kernarg_segment_size: 304
    .language:       OpenCL C
    .language_version:
      - 2
      - 0
    .max_flat_workgroup_size: 1024
    .name:           _ZN12_GLOBAL__N_128groupnorm_kernel_dispatch_upI6__halfLj1024EEEvjjlbPKT_PfS5_
    .private_segment_fixed_size: 0
    .sgpr_count:     27
    .sgpr_spill_count: 0
    .symbol:         _ZN12_GLOBAL__N_128groupnorm_kernel_dispatch_upI6__halfLj1024EEEvjjlbPKT_PfS5_.kd
    .uniform_work_group_size: 1
    .uses_dynamic_stack: false
    .vgpr_count:     16
    .vgpr_spill_count: 0
    .wavefront_size: 64
  - .agpr_count:     0
    .args:
      - .offset:         0
        .size:           4
        .value_kind:     by_value
      - .offset:         4
        .size:           4
        .value_kind:     by_value
      - .offset:         8
        .size:           8
        .value_kind:     by_value
      - .offset:         16
        .size:           4
        .value_kind:     by_value
      - .offset:         20
        .size:           1
        .value_kind:     by_value
      - .address_space:  global
        .offset:         24
        .size:           8
        .value_kind:     global_buffer
      - .address_space:  global
        .offset:         32
        .size:           8
        .value_kind:     global_buffer
      - .address_space:  global
        .offset:         40
        .size:           8
        .value_kind:     global_buffer
      - .address_space:  global
        .offset:         48
        .size:           8
        .value_kind:     global_buffer
      - .address_space:  global
        .offset:         56
        .size:           8
        .value_kind:     global_buffer
      - .address_space:  global
        .offset:         64
        .size:           8
        .value_kind:     global_buffer
      - .offset:         72
        .size:           4
        .value_kind:     hidden_block_count_x
      - .offset:         76
        .size:           4
        .value_kind:     hidden_block_count_y
      - .offset:         80
        .size:           4
        .value_kind:     hidden_block_count_z
      - .offset:         84
        .size:           2
        .value_kind:     hidden_group_size_x
      - .offset:         86
        .size:           2
        .value_kind:     hidden_group_size_y
      - .offset:         88
        .size:           2
        .value_kind:     hidden_group_size_z
      - .offset:         90
        .size:           2
        .value_kind:     hidden_remainder_x
      - .offset:         92
        .size:           2
        .value_kind:     hidden_remainder_y
      - .offset:         94
        .size:           2
        .value_kind:     hidden_remainder_z
      - .offset:         112
        .size:           8
        .value_kind:     hidden_global_offset_x
      - .offset:         120
        .size:           8
        .value_kind:     hidden_global_offset_y
      - .offset:         128
        .size:           8
        .value_kind:     hidden_global_offset_z
      - .offset:         136
        .size:           2
        .value_kind:     hidden_grid_dims
    .group_segment_fixed_size: 128
    .kernarg_segment_align: 8
    .kernarg_segment_size: 328
    .language:       OpenCL C
    .language_version:
      - 2
      - 0
    .max_flat_workgroup_size: 1024
    .name:           _ZN12_GLOBAL__N_130groupnorm_kernel_dispatch_downI6__halfLj1024EEEvjjlfbPKT_S4_S4_PKfS6_PS2_
    .private_segment_fixed_size: 0
    .sgpr_count:     36
    .sgpr_spill_count: 0
    .symbol:         _ZN12_GLOBAL__N_130groupnorm_kernel_dispatch_downI6__halfLj1024EEEvjjlfbPKT_S4_S4_PKfS6_PS2_.kd
    .uniform_work_group_size: 1
    .uses_dynamic_stack: false
    .vgpr_count:     22
    .vgpr_spill_count: 0
    .wavefront_size: 64
  - .agpr_count:     0
    .args:
      - .offset:         0
        .size:           4
        .value_kind:     by_value
      - .offset:         4
        .size:           4
        .value_kind:     by_value
      - .offset:         8
        .size:           8
        .value_kind:     by_value
      - .offset:         16
        .size:           1
        .value_kind:     by_value
      - .address_space:  global
        .offset:         24
        .size:           8
        .value_kind:     global_buffer
      - .address_space:  global
        .offset:         32
        .size:           8
        .value_kind:     global_buffer
      - .address_space:  global
        .offset:         40
        .size:           8
        .value_kind:     global_buffer
      - .offset:         48
        .size:           4
        .value_kind:     hidden_block_count_x
      - .offset:         52
        .size:           4
        .value_kind:     hidden_block_count_y
      - .offset:         56
        .size:           4
        .value_kind:     hidden_block_count_z
      - .offset:         60
        .size:           2
        .value_kind:     hidden_group_size_x
      - .offset:         62
        .size:           2
        .value_kind:     hidden_group_size_y
      - .offset:         64
        .size:           2
        .value_kind:     hidden_group_size_z
      - .offset:         66
        .size:           2
        .value_kind:     hidden_remainder_x
      - .offset:         68
        .size:           2
        .value_kind:     hidden_remainder_y
      - .offset:         70
        .size:           2
        .value_kind:     hidden_remainder_z
      - .offset:         88
        .size:           8
        .value_kind:     hidden_global_offset_x
      - .offset:         96
        .size:           8
        .value_kind:     hidden_global_offset_y
      - .offset:         104
        .size:           8
        .value_kind:     hidden_global_offset_z
      - .offset:         112
        .size:           2
        .value_kind:     hidden_grid_dims
    .group_segment_fixed_size: 128
    .kernarg_segment_align: 8
    .kernarg_segment_size: 304
    .language:       OpenCL C
    .language_version:
      - 2
      - 0
    .max_flat_workgroup_size: 1024
    .name:           _ZN12_GLOBAL__N_128groupnorm_kernel_dispatch_upI14__hip_bfloat16Lj1024EEEvjjlbPKT_PfS5_
    .private_segment_fixed_size: 0
    .sgpr_count:     27
    .sgpr_spill_count: 0
    .symbol:         _ZN12_GLOBAL__N_128groupnorm_kernel_dispatch_upI14__hip_bfloat16Lj1024EEEvjjlbPKT_PfS5_.kd
    .uniform_work_group_size: 1
    .uses_dynamic_stack: false
    .vgpr_count:     16
    .vgpr_spill_count: 0
    .wavefront_size: 64
  - .agpr_count:     0
    .args:
      - .offset:         0
        .size:           4
        .value_kind:     by_value
      - .offset:         4
        .size:           4
        .value_kind:     by_value
      - .offset:         8
        .size:           8
        .value_kind:     by_value
      - .offset:         16
        .size:           4
        .value_kind:     by_value
      - .offset:         20
        .size:           1
        .value_kind:     by_value
      - .address_space:  global
        .offset:         24
        .size:           8
        .value_kind:     global_buffer
      - .address_space:  global
        .offset:         32
        .size:           8
        .value_kind:     global_buffer
      - .address_space:  global
        .offset:         40
        .size:           8
        .value_kind:     global_buffer
      - .address_space:  global
        .offset:         48
        .size:           8
        .value_kind:     global_buffer
      - .address_space:  global
        .offset:         56
        .size:           8
        .value_kind:     global_buffer
      - .address_space:  global
        .offset:         64
        .size:           8
        .value_kind:     global_buffer
      - .offset:         72
        .size:           4
        .value_kind:     hidden_block_count_x
      - .offset:         76
        .size:           4
        .value_kind:     hidden_block_count_y
      - .offset:         80
        .size:           4
        .value_kind:     hidden_block_count_z
      - .offset:         84
        .size:           2
        .value_kind:     hidden_group_size_x
      - .offset:         86
        .size:           2
        .value_kind:     hidden_group_size_y
      - .offset:         88
        .size:           2
        .value_kind:     hidden_group_size_z
      - .offset:         90
        .size:           2
        .value_kind:     hidden_remainder_x
      - .offset:         92
        .size:           2
        .value_kind:     hidden_remainder_y
      - .offset:         94
        .size:           2
        .value_kind:     hidden_remainder_z
      - .offset:         112
        .size:           8
        .value_kind:     hidden_global_offset_x
      - .offset:         120
        .size:           8
        .value_kind:     hidden_global_offset_y
      - .offset:         128
        .size:           8
        .value_kind:     hidden_global_offset_z
      - .offset:         136
        .size:           2
        .value_kind:     hidden_grid_dims
    .group_segment_fixed_size: 128
    .kernarg_segment_align: 8
    .kernarg_segment_size: 328
    .language:       OpenCL C
    .language_version:
      - 2
      - 0
    .max_flat_workgroup_size: 1024
    .name:           _ZN12_GLOBAL__N_130groupnorm_kernel_dispatch_downI14__hip_bfloat16Lj1024EEEvjjlfbPKT_S4_S4_PKfS6_PS2_
    .private_segment_fixed_size: 0
    .sgpr_count:     39
    .sgpr_spill_count: 0
    .symbol:         _ZN12_GLOBAL__N_130groupnorm_kernel_dispatch_downI14__hip_bfloat16Lj1024EEEvjjlfbPKT_S4_S4_PKfS6_PS2_.kd
    .uniform_work_group_size: 1
    .uses_dynamic_stack: false
    .vgpr_count:     21
    .vgpr_spill_count: 0
    .wavefront_size: 64
amdhsa.target:   amdgcn-amd-amdhsa--gfx90a
amdhsa.version:
  - 1
  - 2
...

	.end_amdgpu_metadata
